;; amdgpu-corpus repo=ROCm/hipCUB kind=compiled arch=gfx906 opt=O3
	.amdgcn_target "amdgcn-amd-amdhsa--gfx906"
	.amdhsa_code_object_version 6
	.section	.text._Z19sort_keys_segmentedILj256ELj32ELj7ELb0EiN10test_utils7greaterEEvPT3_PKjT4_,"axG",@progbits,_Z19sort_keys_segmentedILj256ELj32ELj7ELb0EiN10test_utils7greaterEEvPT3_PKjT4_,comdat
	.protected	_Z19sort_keys_segmentedILj256ELj32ELj7ELb0EiN10test_utils7greaterEEvPT3_PKjT4_ ; -- Begin function _Z19sort_keys_segmentedILj256ELj32ELj7ELb0EiN10test_utils7greaterEEvPT3_PKjT4_
	.globl	_Z19sort_keys_segmentedILj256ELj32ELj7ELb0EiN10test_utils7greaterEEvPT3_PKjT4_
	.p2align	8
	.type	_Z19sort_keys_segmentedILj256ELj32ELj7ELb0EiN10test_utils7greaterEEvPT3_PKjT4_,@function
_Z19sort_keys_segmentedILj256ELj32ELj7ELb0EiN10test_utils7greaterEEvPT3_PKjT4_: ; @_Z19sort_keys_segmentedILj256ELj32ELj7ELb0EiN10test_utils7greaterEEvPT3_PKjT4_
; %bb.0:
	s_load_dwordx4 s[0:3], s[4:5], 0x0
	v_lshrrev_b32_e32 v8, 5, v0
	v_lshl_or_b32 v1, s6, 3, v8
	v_mov_b32_e32 v2, 0
	v_lshlrev_b64 v[3:4], 2, v[1:2]
	s_waitcnt lgkmcnt(0)
	v_mov_b32_e32 v0, s3
	v_add_co_u32_e32 v3, vcc, s2, v3
	v_addc_co_u32_e32 v4, vcc, v0, v4, vcc
	global_load_dword v3, v[3:4], off
	s_movk_i32 s2, 0xe0
	v_mul_lo_u32 v1, v1, s2
	v_mbcnt_lo_u32_b32 v0, -1, 0
	v_mbcnt_hi_u32_b32 v6, -1, v0
	v_and_b32_e32 v0, 31, v6
	v_mul_u32_u24_e32 v4, 7, v0
	v_lshlrev_b64 v[0:1], 2, v[1:2]
	v_mov_b32_e32 v5, s1
	v_add_co_u32_e32 v0, vcc, s0, v0
	v_lshlrev_b32_e32 v7, 2, v4
	v_addc_co_u32_e32 v1, vcc, v5, v1, vcc
	v_add_co_u32_e32 v0, vcc, v0, v7
	v_addc_co_u32_e32 v1, vcc, 0, v1, vcc
	v_mov_b32_e32 v11, v2
	v_mov_b32_e32 v13, v2
	;; [unrolled: 1-line block ×6, first 2 shown]
	s_waitcnt vmcnt(0)
	v_cmp_lt_u32_e32 vcc, v4, v3
	s_and_saveexec_b64 s[0:1], vcc
	s_cbranch_execz .LBB0_2
; %bb.1:
	global_load_dword v11, v[0:1], off
	v_mov_b32_e32 v13, v2
	v_mov_b32_e32 v14, v2
	;; [unrolled: 1-line block ×5, first 2 shown]
.LBB0_2:
	s_or_b64 exec, exec, s[0:1]
	v_add_u32_e32 v5, 1, v4
	v_cmp_lt_u32_e64 s[0:1], v5, v3
	s_and_saveexec_b64 s[2:3], s[0:1]
	s_cbranch_execz .LBB0_4
; %bb.3:
	global_load_dword v2, v[0:1], off offset:4
.LBB0_4:
	s_or_b64 exec, exec, s[2:3]
	v_add_u32_e32 v15, 2, v4
	v_cmp_lt_u32_e64 s[2:3], v15, v3
	s_and_saveexec_b64 s[4:5], s[2:3]
	s_cbranch_execz .LBB0_6
; %bb.5:
	global_load_dword v13, v[0:1], off offset:8
.LBB0_6:
	;; [unrolled: 8-line block ×6, first 2 shown]
	s_or_b64 exec, exec, s[12:13]
	v_cmp_lt_i32_e64 s[18:19], v17, v3
	v_cmp_lt_i32_e64 s[20:21], v19, v3
	;; [unrolled: 1-line block ×3, first 2 shown]
	s_or_b64 s[18:19], s[20:21], s[18:19]
	v_cmp_lt_i32_e64 s[14:15], v15, v3
	s_or_b64 s[16:17], s[18:19], s[16:17]
	v_cmp_lt_i32_e64 s[12:13], v5, v3
	s_or_b64 s[14:15], s[16:17], s[14:15]
	v_bfrev_b32_e32 v5, 1
	s_or_b64 s[12:13], s[14:15], s[12:13]
	s_brev_b32 s22, 1
	s_waitcnt vmcnt(0)
	v_cndmask_b32_e64 v12, v5, v12, s[20:21]
	v_cndmask_b32_e64 v9, v5, v9, s[18:19]
	;; [unrolled: 1-line block ×5, first 2 shown]
	v_cmp_lt_i32_e64 s[16:17], v18, v3
	v_cmp_ge_i32_e64 s[12:13], v18, v3
	s_and_saveexec_b64 s[14:15], s[12:13]
; %bb.15:
	v_cmp_lt_i32_e64 s[12:13], v4, v3
	s_andn2_b64 s[16:17], s[16:17], exec
	s_and_b64 s[12:13], s[12:13], exec
	v_mov_b32_e32 v10, s22
	s_or_b64 s[16:17], s[16:17], s[12:13]
; %bb.16:
	s_or_b64 exec, exec, s[14:15]
	s_and_saveexec_b64 s[14:15], s[16:17]
	s_cbranch_execz .LBB0_20
; %bb.17:
	v_cmp_gt_i32_e64 s[12:13], v2, v11
	v_cndmask_b32_e64 v5, v11, v2, s[12:13]
	v_cndmask_b32_e64 v15, v2, v11, s[12:13]
	v_cmp_gt_i32_e64 s[12:13], v14, v13
	v_max_i32_e32 v16, v2, v11
	v_min_i32_e32 v2, v2, v11
	v_cndmask_b32_e64 v11, v14, v13, s[12:13]
	v_cndmask_b32_e64 v17, v13, v14, s[12:13]
	v_min_i32_e32 v18, v14, v13
	v_max_i32_e32 v13, v14, v13
	v_cmp_gt_i32_e64 s[12:13], v12, v9
	v_cndmask_b32_e64 v14, v12, v9, s[12:13]
	v_cndmask_b32_e64 v19, v9, v12, s[12:13]
	v_min_i32_e32 v20, v12, v9
	v_max_i32_e32 v9, v12, v9
	v_cmp_gt_i32_e64 s[12:13], v13, v2
	v_cndmask_b32_e64 v12, v17, v2, s[12:13]
	v_cndmask_b32_e64 v15, v15, v13, s[12:13]
	v_cmp_gt_i32_e64 s[12:13], v9, v18
	v_cndmask_b32_e64 v19, v19, v18, s[12:13]
	v_cndmask_b32_e64 v11, v11, v9, s[12:13]
	v_cmp_gt_i32_e64 s[12:13], v10, v20
	v_min_i32_e32 v17, v13, v2
	v_max_i32_e32 v2, v13, v2
	v_min_i32_e32 v21, v9, v18
	v_max_i32_e32 v9, v9, v18
	v_cndmask_b32_e64 v18, v10, v20, s[12:13]
	v_cndmask_b32_e64 v14, v14, v10, s[12:13]
	v_cmp_gt_i32_e64 s[12:13], v13, v16
	v_min_i32_e32 v22, v10, v20
	v_max_i32_e32 v10, v10, v20
	v_cndmask_b32_e64 v5, v5, v2, s[12:13]
	v_cndmask_b32_e64 v13, v15, v16, s[12:13]
	;; [unrolled: 1-line block ×4, first 2 shown]
	v_cmp_gt_i32_e64 s[12:13], v9, v17
	v_cndmask_b32_e64 v11, v11, v17, s[12:13]
	v_cndmask_b32_e64 v12, v12, v9, s[12:13]
	v_min_i32_e32 v16, v9, v17
	v_max_i32_e32 v9, v9, v17
	v_cmp_gt_i32_e64 s[12:13], v10, v21
	v_cndmask_b32_e64 v14, v14, v21, s[12:13]
	v_cndmask_b32_e64 v17, v19, v10, s[12:13]
	v_min_i32_e32 v19, v10, v21
	v_max_i32_e32 v10, v10, v21
	v_cmp_gt_i32_e64 s[12:13], v9, v2
	v_cndmask_b32_e64 v12, v12, v2, s[12:13]
	v_cndmask_b32_e64 v13, v13, v9, s[12:13]
	v_cmp_gt_i32_e64 s[12:13], v10, v16
	v_min_i32_e32 v20, v9, v2
	v_max_i32_e32 v2, v9, v2
	v_cndmask_b32_e64 v9, v17, v16, s[12:13]
	v_cndmask_b32_e64 v11, v11, v10, s[12:13]
	v_cmp_lt_i32_e64 s[12:13], v21, v22
	v_min_i32_e32 v17, v10, v16
	v_max_i32_e32 v10, v10, v16
	v_cndmask_b32_e64 v16, v18, v19, s[12:13]
	v_cndmask_b32_e64 v14, v14, v22, s[12:13]
	;; [unrolled: 1-line block ×4, first 2 shown]
	v_cmp_gt_i32_e64 s[12:13], v2, v15
	v_cndmask_b32_e64 v21, v5, v2, s[12:13]
	v_cndmask_b32_e64 v5, v13, v15, s[12:13]
	v_cmp_gt_i32_e64 s[12:13], v10, v20
	v_max_i32_e32 v13, v2, v15
	v_min_i32_e32 v2, v2, v15
	v_cndmask_b32_e64 v11, v11, v20, s[12:13]
	v_cndmask_b32_e64 v12, v12, v10, s[12:13]
	v_min_i32_e32 v15, v10, v20
	v_max_i32_e32 v20, v10, v20
	v_cmp_gt_i32_e64 s[12:13], v19, v17
	v_cndmask_b32_e64 v14, v14, v17, s[12:13]
	v_cndmask_b32_e64 v9, v9, v19, s[12:13]
	v_max_i32_e32 v10, v19, v17
	v_cmp_gt_i32_e64 s[12:13], v20, v2
	v_min_i32_e32 v22, v19, v17
	v_cndmask_b32_e64 v17, v12, v2, s[12:13]
	v_cndmask_b32_e64 v19, v5, v20, s[12:13]
	v_cmp_gt_i32_e64 s[12:13], v10, v15
	v_cndmask_b32_e64 v9, v9, v15, s[12:13]
	v_cndmask_b32_e64 v24, v11, v10, s[12:13]
	v_cmp_gt_i32_e64 s[12:13], v18, v22
	v_min_i32_e32 v23, v20, v2
	v_max_i32_e32 v2, v20, v2
	v_min_i32_e32 v5, v10, v15
	v_max_i32_e32 v25, v10, v15
	v_cndmask_b32_e64 v10, v16, v22, s[12:13]
	v_cndmask_b32_e64 v12, v14, v18, s[12:13]
	v_cmp_gt_i32_e64 s[12:13], v20, v13
	v_max_i32_e32 v15, v18, v22
	v_cndmask_b32_e64 v11, v21, v2, s[12:13]
	v_cndmask_b32_e64 v2, v19, v13, s[12:13]
	v_cmp_gt_i32_e64 s[12:13], v25, v23
	v_cndmask_b32_e64 v14, v24, v23, s[12:13]
	v_cndmask_b32_e64 v13, v17, v25, s[12:13]
	v_cmp_gt_i32_e64 s[12:13], v15, v5
	s_and_saveexec_b64 s[16:17], s[12:13]
; %bb.18:
	v_mov_b32_e32 v9, v15
	v_mov_b32_e32 v12, v5
; %bb.19:
	s_or_b64 exec, exec, s[16:17]
.LBB0_20:
	s_or_b64 exec, exec, s[14:15]
	s_movk_i32 s14, 0x384
	v_mad_u32_u24 v7, v8, s14, v7
	; wave barrier
	ds_write2_b32 v7, v11, v2 offset1:1
	ds_write2_b32 v7, v13, v14 offset0:2 offset1:3
	ds_write2_b32 v7, v9, v12 offset0:4 offset1:5
	ds_write_b32 v7, v10 offset:24
	v_and_b32_e32 v2, 30, v6
	v_mul_u32_u24_e32 v2, 7, v2
	v_and_b32_e32 v9, 1, v6
	v_min_i32_e32 v11, v3, v2
	v_cmp_eq_u32_e64 s[12:13], 1, v9
	v_add_u32_e32 v2, 7, v11
	v_cndmask_b32_e64 v9, 0, 7, s[12:13]
	v_min_i32_e32 v2, v3, v2
	v_min_i32_e32 v10, v3, v9
	v_add_u32_e32 v9, 7, v2
	v_min_i32_e32 v9, v3, v9
	v_sub_u32_e32 v12, v9, v2
	v_lshlrev_b32_e32 v14, 2, v11
	v_mul_u32_u24_e32 v5, 0x384, v8
	v_sub_u32_e32 v13, v2, v11
	v_mad_u32_u24 v8, v8, s14, v14
	v_sub_u32_e32 v14, v10, v12
	v_cmp_ge_i32_e64 s[12:13], v10, v12
	v_cndmask_b32_e64 v12, 0, v14, s[12:13]
	v_min_i32_e32 v13, v10, v13
	v_cmp_lt_i32_e64 s[12:13], v12, v13
	; wave barrier
	s_and_saveexec_b64 s[14:15], s[12:13]
	s_cbranch_execz .LBB0_24
; %bb.21:
	v_lshlrev_b32_e32 v14, 2, v2
	v_lshlrev_b32_e32 v15, 2, v10
	v_add3_u32 v14, v5, v14, v15
	s_mov_b64 s[16:17], 0
.LBB0_22:                               ; =>This Inner Loop Header: Depth=1
	v_sub_u32_e32 v15, v13, v12
	v_lshrrev_b32_e32 v15, 1, v15
	v_add_u32_e32 v15, v15, v12
	v_not_b32_e32 v17, v15
	v_lshl_add_u32 v16, v15, 2, v8
	v_lshl_add_u32 v17, v17, 2, v14
	ds_read_b32 v16, v16
	ds_read_b32 v17, v17
	v_add_u32_e32 v18, 1, v15
	s_waitcnt lgkmcnt(0)
	v_cmp_gt_i32_e64 s[12:13], v17, v16
	v_cndmask_b32_e64 v13, v13, v15, s[12:13]
	v_cndmask_b32_e64 v12, v18, v12, s[12:13]
	v_cmp_ge_i32_e64 s[12:13], v12, v13
	s_or_b64 s[16:17], s[12:13], s[16:17]
	s_andn2_b64 exec, exec, s[16:17]
	s_cbranch_execnz .LBB0_22
; %bb.23:
	s_or_b64 exec, exec, s[16:17]
.LBB0_24:
	s_or_b64 exec, exec, s[14:15]
	v_add_u32_e32 v10, v2, v10
	v_sub_u32_e32 v13, v10, v12
	v_lshl_add_u32 v16, v12, 2, v8
	v_lshl_add_u32 v15, v13, 2, v5
	ds_read_b32 v8, v16
	ds_read_b32 v10, v15
	v_add_u32_e32 v14, v12, v11
	v_cmp_le_i32_e64 s[14:15], v2, v14
	v_cmp_gt_i32_e64 s[12:13], v9, v13
                                        ; implicit-def: $vgpr11
	s_waitcnt lgkmcnt(0)
	v_cmp_gt_i32_e64 s[16:17], v10, v8
	s_or_b64 s[14:15], s[14:15], s[16:17]
	s_and_b64 s[12:13], s[12:13], s[14:15]
	s_xor_b64 s[14:15], s[12:13], -1
	s_and_saveexec_b64 s[16:17], s[14:15]
	s_xor_b64 s[14:15], exec, s[16:17]
; %bb.25:
	ds_read_b32 v11, v16 offset:4
                                        ; implicit-def: $vgpr15
; %bb.26:
	s_or_saveexec_b64 s[14:15], s[14:15]
	v_mov_b32_e32 v12, v10
	s_xor_b64 exec, exec, s[14:15]
	s_cbranch_execz .LBB0_28
; %bb.27:
	ds_read_b32 v12, v15 offset:4
	s_waitcnt lgkmcnt(1)
	v_mov_b32_e32 v11, v8
.LBB0_28:
	s_or_b64 exec, exec, s[14:15]
	v_add_u32_e32 v16, 1, v14
	v_add_u32_e32 v15, 1, v13
	v_cndmask_b32_e64 v16, v16, v14, s[12:13]
	v_cndmask_b32_e64 v15, v13, v15, s[12:13]
	v_cmp_ge_i32_e64 s[16:17], v16, v2
	s_waitcnt lgkmcnt(0)
	v_cmp_gt_i32_e64 s[18:19], v12, v11
	v_cmp_lt_i32_e64 s[14:15], v15, v9
	s_or_b64 s[16:17], s[16:17], s[18:19]
	s_and_b64 s[14:15], s[14:15], s[16:17]
	s_xor_b64 s[16:17], s[14:15], -1
                                        ; implicit-def: $vgpr13
	s_and_saveexec_b64 s[18:19], s[16:17]
	s_xor_b64 s[16:17], exec, s[18:19]
; %bb.29:
	v_lshl_add_u32 v13, v16, 2, v5
	ds_read_b32 v13, v13 offset:4
; %bb.30:
	s_or_saveexec_b64 s[16:17], s[16:17]
	v_mov_b32_e32 v14, v12
	s_xor_b64 exec, exec, s[16:17]
	s_cbranch_execz .LBB0_32
; %bb.31:
	s_waitcnt lgkmcnt(0)
	v_lshl_add_u32 v13, v15, 2, v5
	ds_read_b32 v14, v13 offset:4
	v_mov_b32_e32 v13, v11
.LBB0_32:
	s_or_b64 exec, exec, s[16:17]
	v_add_u32_e32 v18, 1, v16
	v_add_u32_e32 v17, 1, v15
	v_cndmask_b32_e64 v18, v18, v16, s[14:15]
	v_cndmask_b32_e64 v17, v15, v17, s[14:15]
	v_cmp_ge_i32_e64 s[18:19], v18, v2
	s_waitcnt lgkmcnt(0)
	v_cmp_gt_i32_e64 s[20:21], v14, v13
	v_cmp_lt_i32_e64 s[16:17], v17, v9
	s_or_b64 s[18:19], s[18:19], s[20:21]
	s_and_b64 s[16:17], s[16:17], s[18:19]
	s_xor_b64 s[18:19], s[16:17], -1
                                        ; implicit-def: $vgpr15
	s_and_saveexec_b64 s[20:21], s[18:19]
	s_xor_b64 s[18:19], exec, s[20:21]
; %bb.33:
	v_lshl_add_u32 v15, v18, 2, v5
	ds_read_b32 v15, v15 offset:4
; %bb.34:
	s_or_saveexec_b64 s[18:19], s[18:19]
	v_mov_b32_e32 v16, v14
	s_xor_b64 exec, exec, s[18:19]
	s_cbranch_execz .LBB0_36
; %bb.35:
	s_waitcnt lgkmcnt(0)
	v_lshl_add_u32 v15, v17, 2, v5
	ds_read_b32 v16, v15 offset:4
	v_mov_b32_e32 v15, v13
.LBB0_36:
	s_or_b64 exec, exec, s[18:19]
	v_add_u32_e32 v20, 1, v18
	v_add_u32_e32 v19, 1, v17
	v_cndmask_b32_e64 v20, v20, v18, s[16:17]
	v_cndmask_b32_e64 v19, v17, v19, s[16:17]
	v_cmp_ge_i32_e64 s[20:21], v20, v2
	s_waitcnt lgkmcnt(0)
	v_cmp_gt_i32_e64 s[22:23], v16, v15
	v_cmp_lt_i32_e64 s[18:19], v19, v9
	s_or_b64 s[20:21], s[20:21], s[22:23]
	s_and_b64 s[18:19], s[18:19], s[20:21]
	s_xor_b64 s[20:21], s[18:19], -1
                                        ; implicit-def: $vgpr17
	s_and_saveexec_b64 s[22:23], s[20:21]
	s_xor_b64 s[20:21], exec, s[22:23]
; %bb.37:
	v_lshl_add_u32 v17, v20, 2, v5
	ds_read_b32 v17, v17 offset:4
; %bb.38:
	s_or_saveexec_b64 s[20:21], s[20:21]
	v_mov_b32_e32 v18, v16
	s_xor_b64 exec, exec, s[20:21]
	s_cbranch_execz .LBB0_40
; %bb.39:
	s_waitcnt lgkmcnt(0)
	v_lshl_add_u32 v17, v19, 2, v5
	ds_read_b32 v18, v17 offset:4
	v_mov_b32_e32 v17, v15
.LBB0_40:
	s_or_b64 exec, exec, s[20:21]
	v_add_u32_e32 v22, 1, v20
	v_add_u32_e32 v21, 1, v19
	v_cndmask_b32_e64 v22, v22, v20, s[18:19]
	v_cndmask_b32_e64 v21, v19, v21, s[18:19]
	v_cmp_ge_i32_e64 s[22:23], v22, v2
	s_waitcnt lgkmcnt(0)
	v_cmp_gt_i32_e64 s[24:25], v18, v17
	v_cmp_lt_i32_e64 s[20:21], v21, v9
	s_or_b64 s[22:23], s[22:23], s[24:25]
	s_and_b64 s[20:21], s[20:21], s[22:23]
	s_xor_b64 s[22:23], s[20:21], -1
                                        ; implicit-def: $vgpr19
	s_and_saveexec_b64 s[24:25], s[22:23]
	s_xor_b64 s[22:23], exec, s[24:25]
; %bb.41:
	v_lshl_add_u32 v19, v22, 2, v5
	ds_read_b32 v19, v19 offset:4
; %bb.42:
	s_or_saveexec_b64 s[22:23], s[22:23]
	v_mov_b32_e32 v20, v18
	s_xor_b64 exec, exec, s[22:23]
	s_cbranch_execz .LBB0_44
; %bb.43:
	s_waitcnt lgkmcnt(0)
	v_lshl_add_u32 v19, v21, 2, v5
	ds_read_b32 v20, v19 offset:4
	v_mov_b32_e32 v19, v17
.LBB0_44:
	s_or_b64 exec, exec, s[22:23]
	v_add_u32_e32 v24, 1, v22
	v_add_u32_e32 v23, 1, v21
	v_cndmask_b32_e64 v22, v24, v22, s[20:21]
	v_cndmask_b32_e64 v21, v21, v23, s[20:21]
	v_cmp_ge_i32_e64 s[24:25], v22, v2
	s_waitcnt lgkmcnt(0)
	v_cmp_gt_i32_e64 s[26:27], v20, v19
	v_cmp_lt_i32_e64 s[22:23], v21, v9
	s_or_b64 s[24:25], s[24:25], s[26:27]
	s_and_b64 s[22:23], s[22:23], s[24:25]
	s_xor_b64 s[24:25], s[22:23], -1
                                        ; implicit-def: $vgpr23
	s_and_saveexec_b64 s[26:27], s[24:25]
	s_xor_b64 s[24:25], exec, s[26:27]
; %bb.45:
	v_lshl_add_u32 v23, v22, 2, v5
	ds_read_b32 v23, v23 offset:4
; %bb.46:
	s_or_saveexec_b64 s[24:25], s[24:25]
	v_mov_b32_e32 v24, v20
	s_xor_b64 exec, exec, s[24:25]
	s_cbranch_execz .LBB0_48
; %bb.47:
	s_waitcnt lgkmcnt(0)
	v_lshl_add_u32 v23, v21, 2, v5
	ds_read_b32 v24, v23 offset:4
	v_mov_b32_e32 v23, v19
.LBB0_48:
	s_or_b64 exec, exec, s[24:25]
	v_cndmask_b32_e64 v19, v19, v20, s[22:23]
	v_add_u32_e32 v20, 1, v21
	v_add_u32_e32 v25, 1, v22
	v_cndmask_b32_e64 v20, v21, v20, s[22:23]
	v_cndmask_b32_e64 v21, v25, v22, s[22:23]
	;; [unrolled: 1-line block ×4, first 2 shown]
	v_cmp_ge_i32_e64 s[14:15], v21, v2
	s_waitcnt lgkmcnt(0)
	v_cmp_gt_i32_e64 s[16:17], v24, v23
	v_cndmask_b32_e64 v8, v8, v10, s[12:13]
	v_cmp_lt_i32_e64 s[12:13], v20, v9
	s_or_b64 s[14:15], s[14:15], s[16:17]
	s_and_b64 s[12:13], s[12:13], s[14:15]
	v_cndmask_b32_e64 v2, v23, v24, s[12:13]
	v_cndmask_b32_e64 v17, v17, v18, s[20:21]
	;; [unrolled: 1-line block ×3, first 2 shown]
	; wave barrier
	ds_write2_b32 v7, v8, v11 offset1:1
	ds_write2_b32 v7, v13, v15 offset0:2 offset1:3
	ds_write2_b32 v7, v17, v19 offset0:4 offset1:5
	ds_write_b32 v7, v2 offset:24
	v_and_b32_e32 v2, 28, v6
	v_mul_u32_u24_e32 v2, 7, v2
	v_min_i32_e32 v11, v3, v2
	v_and_b32_e32 v8, 3, v6
	v_add_u32_e32 v2, 14, v11
	v_mul_u32_u24_e32 v8, 7, v8
	v_min_i32_e32 v2, v3, v2
	v_min_i32_e32 v9, v3, v8
	v_add_u32_e32 v8, 14, v2
	v_min_i32_e32 v8, v3, v8
	v_sub_u32_e32 v12, v8, v2
	v_sub_u32_e32 v13, v2, v11
	;; [unrolled: 1-line block ×3, first 2 shown]
	v_cmp_ge_i32_e64 s[12:13], v9, v12
	v_cndmask_b32_e64 v12, 0, v14, s[12:13]
	v_min_i32_e32 v13, v9, v13
	v_lshl_add_u32 v10, v11, 2, v5
	v_cmp_lt_i32_e64 s[12:13], v12, v13
	; wave barrier
	s_and_saveexec_b64 s[14:15], s[12:13]
	s_cbranch_execz .LBB0_52
; %bb.49:
	v_lshlrev_b32_e32 v14, 2, v2
	v_lshlrev_b32_e32 v15, 2, v9
	v_add3_u32 v14, v5, v14, v15
	s_mov_b64 s[16:17], 0
.LBB0_50:                               ; =>This Inner Loop Header: Depth=1
	v_sub_u32_e32 v15, v13, v12
	v_lshrrev_b32_e32 v15, 1, v15
	v_add_u32_e32 v15, v15, v12
	v_not_b32_e32 v17, v15
	v_lshl_add_u32 v16, v15, 2, v10
	v_lshl_add_u32 v17, v17, 2, v14
	ds_read_b32 v16, v16
	ds_read_b32 v17, v17
	v_add_u32_e32 v18, 1, v15
	s_waitcnt lgkmcnt(0)
	v_cmp_gt_i32_e64 s[12:13], v17, v16
	v_cndmask_b32_e64 v13, v13, v15, s[12:13]
	v_cndmask_b32_e64 v12, v18, v12, s[12:13]
	v_cmp_ge_i32_e64 s[12:13], v12, v13
	s_or_b64 s[16:17], s[12:13], s[16:17]
	s_andn2_b64 exec, exec, s[16:17]
	s_cbranch_execnz .LBB0_50
; %bb.51:
	s_or_b64 exec, exec, s[16:17]
.LBB0_52:
	s_or_b64 exec, exec, s[14:15]
	v_add_u32_e32 v9, v2, v9
	v_sub_u32_e32 v13, v9, v12
	v_lshl_add_u32 v16, v12, 2, v10
	v_lshl_add_u32 v15, v13, 2, v5
	ds_read_b32 v9, v16
	ds_read_b32 v10, v15
	v_add_u32_e32 v14, v12, v11
	v_cmp_le_i32_e64 s[14:15], v2, v14
	v_cmp_gt_i32_e64 s[12:13], v8, v13
                                        ; implicit-def: $vgpr11
	s_waitcnt lgkmcnt(0)
	v_cmp_gt_i32_e64 s[16:17], v10, v9
	s_or_b64 s[14:15], s[14:15], s[16:17]
	s_and_b64 s[12:13], s[12:13], s[14:15]
	s_xor_b64 s[14:15], s[12:13], -1
	s_and_saveexec_b64 s[16:17], s[14:15]
	s_xor_b64 s[14:15], exec, s[16:17]
; %bb.53:
	ds_read_b32 v11, v16 offset:4
                                        ; implicit-def: $vgpr15
; %bb.54:
	s_or_saveexec_b64 s[14:15], s[14:15]
	v_mov_b32_e32 v12, v10
	s_xor_b64 exec, exec, s[14:15]
	s_cbranch_execz .LBB0_56
; %bb.55:
	ds_read_b32 v12, v15 offset:4
	s_waitcnt lgkmcnt(1)
	v_mov_b32_e32 v11, v9
.LBB0_56:
	s_or_b64 exec, exec, s[14:15]
	v_add_u32_e32 v16, 1, v14
	v_add_u32_e32 v15, 1, v13
	v_cndmask_b32_e64 v16, v16, v14, s[12:13]
	v_cndmask_b32_e64 v15, v13, v15, s[12:13]
	v_cmp_ge_i32_e64 s[16:17], v16, v2
	s_waitcnt lgkmcnt(0)
	v_cmp_gt_i32_e64 s[18:19], v12, v11
	v_cmp_lt_i32_e64 s[14:15], v15, v8
	s_or_b64 s[16:17], s[16:17], s[18:19]
	s_and_b64 s[14:15], s[14:15], s[16:17]
	s_xor_b64 s[16:17], s[14:15], -1
                                        ; implicit-def: $vgpr13
	s_and_saveexec_b64 s[18:19], s[16:17]
	s_xor_b64 s[16:17], exec, s[18:19]
; %bb.57:
	v_lshl_add_u32 v13, v16, 2, v5
	ds_read_b32 v13, v13 offset:4
; %bb.58:
	s_or_saveexec_b64 s[16:17], s[16:17]
	v_mov_b32_e32 v14, v12
	s_xor_b64 exec, exec, s[16:17]
	s_cbranch_execz .LBB0_60
; %bb.59:
	s_waitcnt lgkmcnt(0)
	v_lshl_add_u32 v13, v15, 2, v5
	ds_read_b32 v14, v13 offset:4
	v_mov_b32_e32 v13, v11
.LBB0_60:
	s_or_b64 exec, exec, s[16:17]
	v_add_u32_e32 v18, 1, v16
	v_add_u32_e32 v17, 1, v15
	v_cndmask_b32_e64 v18, v18, v16, s[14:15]
	v_cndmask_b32_e64 v17, v15, v17, s[14:15]
	v_cmp_ge_i32_e64 s[18:19], v18, v2
	s_waitcnt lgkmcnt(0)
	v_cmp_gt_i32_e64 s[20:21], v14, v13
	v_cmp_lt_i32_e64 s[16:17], v17, v8
	s_or_b64 s[18:19], s[18:19], s[20:21]
	s_and_b64 s[16:17], s[16:17], s[18:19]
	s_xor_b64 s[18:19], s[16:17], -1
                                        ; implicit-def: $vgpr15
	s_and_saveexec_b64 s[20:21], s[18:19]
	s_xor_b64 s[18:19], exec, s[20:21]
; %bb.61:
	v_lshl_add_u32 v15, v18, 2, v5
	ds_read_b32 v15, v15 offset:4
; %bb.62:
	s_or_saveexec_b64 s[18:19], s[18:19]
	v_mov_b32_e32 v16, v14
	s_xor_b64 exec, exec, s[18:19]
	s_cbranch_execz .LBB0_64
; %bb.63:
	s_waitcnt lgkmcnt(0)
	v_lshl_add_u32 v15, v17, 2, v5
	ds_read_b32 v16, v15 offset:4
	v_mov_b32_e32 v15, v13
.LBB0_64:
	s_or_b64 exec, exec, s[18:19]
	v_add_u32_e32 v20, 1, v18
	v_add_u32_e32 v19, 1, v17
	v_cndmask_b32_e64 v20, v20, v18, s[16:17]
	v_cndmask_b32_e64 v19, v17, v19, s[16:17]
	v_cmp_ge_i32_e64 s[20:21], v20, v2
	s_waitcnt lgkmcnt(0)
	v_cmp_gt_i32_e64 s[22:23], v16, v15
	v_cmp_lt_i32_e64 s[18:19], v19, v8
	s_or_b64 s[20:21], s[20:21], s[22:23]
	s_and_b64 s[18:19], s[18:19], s[20:21]
	s_xor_b64 s[20:21], s[18:19], -1
                                        ; implicit-def: $vgpr17
	s_and_saveexec_b64 s[22:23], s[20:21]
	s_xor_b64 s[20:21], exec, s[22:23]
; %bb.65:
	v_lshl_add_u32 v17, v20, 2, v5
	ds_read_b32 v17, v17 offset:4
; %bb.66:
	s_or_saveexec_b64 s[20:21], s[20:21]
	v_mov_b32_e32 v18, v16
	s_xor_b64 exec, exec, s[20:21]
	s_cbranch_execz .LBB0_68
; %bb.67:
	s_waitcnt lgkmcnt(0)
	v_lshl_add_u32 v17, v19, 2, v5
	ds_read_b32 v18, v17 offset:4
	v_mov_b32_e32 v17, v15
.LBB0_68:
	s_or_b64 exec, exec, s[20:21]
	v_add_u32_e32 v22, 1, v20
	v_add_u32_e32 v21, 1, v19
	v_cndmask_b32_e64 v22, v22, v20, s[18:19]
	v_cndmask_b32_e64 v21, v19, v21, s[18:19]
	v_cmp_ge_i32_e64 s[22:23], v22, v2
	s_waitcnt lgkmcnt(0)
	v_cmp_gt_i32_e64 s[24:25], v18, v17
	v_cmp_lt_i32_e64 s[20:21], v21, v8
	s_or_b64 s[22:23], s[22:23], s[24:25]
	s_and_b64 s[20:21], s[20:21], s[22:23]
	s_xor_b64 s[22:23], s[20:21], -1
                                        ; implicit-def: $vgpr19
	s_and_saveexec_b64 s[24:25], s[22:23]
	s_xor_b64 s[22:23], exec, s[24:25]
; %bb.69:
	v_lshl_add_u32 v19, v22, 2, v5
	ds_read_b32 v19, v19 offset:4
; %bb.70:
	s_or_saveexec_b64 s[22:23], s[22:23]
	v_mov_b32_e32 v20, v18
	s_xor_b64 exec, exec, s[22:23]
	s_cbranch_execz .LBB0_72
; %bb.71:
	s_waitcnt lgkmcnt(0)
	v_lshl_add_u32 v19, v21, 2, v5
	ds_read_b32 v20, v19 offset:4
	v_mov_b32_e32 v19, v17
.LBB0_72:
	s_or_b64 exec, exec, s[22:23]
	v_add_u32_e32 v24, 1, v22
	v_add_u32_e32 v23, 1, v21
	v_cndmask_b32_e64 v22, v24, v22, s[20:21]
	v_cndmask_b32_e64 v21, v21, v23, s[20:21]
	v_cmp_ge_i32_e64 s[24:25], v22, v2
	s_waitcnt lgkmcnt(0)
	v_cmp_gt_i32_e64 s[26:27], v20, v19
	v_cmp_lt_i32_e64 s[22:23], v21, v8
	s_or_b64 s[24:25], s[24:25], s[26:27]
	s_and_b64 s[22:23], s[22:23], s[24:25]
	s_xor_b64 s[24:25], s[22:23], -1
                                        ; implicit-def: $vgpr23
	s_and_saveexec_b64 s[26:27], s[24:25]
	s_xor_b64 s[24:25], exec, s[26:27]
; %bb.73:
	v_lshl_add_u32 v23, v22, 2, v5
	ds_read_b32 v23, v23 offset:4
; %bb.74:
	s_or_saveexec_b64 s[24:25], s[24:25]
	v_mov_b32_e32 v24, v20
	s_xor_b64 exec, exec, s[24:25]
	s_cbranch_execz .LBB0_76
; %bb.75:
	s_waitcnt lgkmcnt(0)
	v_lshl_add_u32 v23, v21, 2, v5
	ds_read_b32 v24, v23 offset:4
	v_mov_b32_e32 v23, v19
.LBB0_76:
	s_or_b64 exec, exec, s[24:25]
	v_cndmask_b32_e64 v19, v19, v20, s[22:23]
	v_add_u32_e32 v20, 1, v21
	v_add_u32_e32 v25, 1, v22
	v_cndmask_b32_e64 v20, v21, v20, s[22:23]
	v_cndmask_b32_e64 v21, v25, v22, s[22:23]
	;; [unrolled: 1-line block ×4, first 2 shown]
	v_cmp_ge_i32_e64 s[14:15], v21, v2
	s_waitcnt lgkmcnt(0)
	v_cmp_gt_i32_e64 s[16:17], v24, v23
	v_cndmask_b32_e64 v9, v9, v10, s[12:13]
	v_cmp_lt_i32_e64 s[12:13], v20, v8
	s_or_b64 s[14:15], s[14:15], s[16:17]
	s_and_b64 s[12:13], s[12:13], s[14:15]
	v_cndmask_b32_e64 v2, v23, v24, s[12:13]
	v_cndmask_b32_e64 v17, v17, v18, s[20:21]
	v_cndmask_b32_e64 v15, v15, v16, s[18:19]
	; wave barrier
	ds_write2_b32 v7, v9, v11 offset1:1
	ds_write2_b32 v7, v13, v15 offset0:2 offset1:3
	ds_write2_b32 v7, v17, v19 offset0:4 offset1:5
	ds_write_b32 v7, v2 offset:24
	v_and_b32_e32 v2, 24, v6
	v_mul_u32_u24_e32 v2, 7, v2
	v_min_i32_e32 v11, v3, v2
	v_and_b32_e32 v8, 7, v6
	v_add_u32_e32 v2, 28, v11
	v_mul_u32_u24_e32 v8, 7, v8
	v_min_i32_e32 v2, v3, v2
	v_min_i32_e32 v9, v3, v8
	v_add_u32_e32 v8, 28, v2
	v_min_i32_e32 v8, v3, v8
	v_sub_u32_e32 v12, v8, v2
	v_sub_u32_e32 v13, v2, v11
	;; [unrolled: 1-line block ×3, first 2 shown]
	v_cmp_ge_i32_e64 s[12:13], v9, v12
	v_cndmask_b32_e64 v12, 0, v14, s[12:13]
	v_min_i32_e32 v13, v9, v13
	v_lshl_add_u32 v10, v11, 2, v5
	v_cmp_lt_i32_e64 s[12:13], v12, v13
	; wave barrier
	s_and_saveexec_b64 s[14:15], s[12:13]
	s_cbranch_execz .LBB0_80
; %bb.77:
	v_lshlrev_b32_e32 v14, 2, v2
	v_lshlrev_b32_e32 v15, 2, v9
	v_add3_u32 v14, v5, v14, v15
	s_mov_b64 s[16:17], 0
.LBB0_78:                               ; =>This Inner Loop Header: Depth=1
	v_sub_u32_e32 v15, v13, v12
	v_lshrrev_b32_e32 v15, 1, v15
	v_add_u32_e32 v15, v15, v12
	v_not_b32_e32 v17, v15
	v_lshl_add_u32 v16, v15, 2, v10
	v_lshl_add_u32 v17, v17, 2, v14
	ds_read_b32 v16, v16
	ds_read_b32 v17, v17
	v_add_u32_e32 v18, 1, v15
	s_waitcnt lgkmcnt(0)
	v_cmp_gt_i32_e64 s[12:13], v17, v16
	v_cndmask_b32_e64 v13, v13, v15, s[12:13]
	v_cndmask_b32_e64 v12, v18, v12, s[12:13]
	v_cmp_ge_i32_e64 s[12:13], v12, v13
	s_or_b64 s[16:17], s[12:13], s[16:17]
	s_andn2_b64 exec, exec, s[16:17]
	s_cbranch_execnz .LBB0_78
; %bb.79:
	s_or_b64 exec, exec, s[16:17]
.LBB0_80:
	s_or_b64 exec, exec, s[14:15]
	v_add_u32_e32 v9, v2, v9
	v_sub_u32_e32 v13, v9, v12
	v_lshl_add_u32 v16, v12, 2, v10
	v_lshl_add_u32 v15, v13, 2, v5
	ds_read_b32 v9, v16
	ds_read_b32 v10, v15
	v_add_u32_e32 v14, v12, v11
	v_cmp_le_i32_e64 s[14:15], v2, v14
	v_cmp_gt_i32_e64 s[12:13], v8, v13
                                        ; implicit-def: $vgpr11
	s_waitcnt lgkmcnt(0)
	v_cmp_gt_i32_e64 s[16:17], v10, v9
	s_or_b64 s[14:15], s[14:15], s[16:17]
	s_and_b64 s[12:13], s[12:13], s[14:15]
	s_xor_b64 s[14:15], s[12:13], -1
	s_and_saveexec_b64 s[16:17], s[14:15]
	s_xor_b64 s[14:15], exec, s[16:17]
; %bb.81:
	ds_read_b32 v11, v16 offset:4
                                        ; implicit-def: $vgpr15
; %bb.82:
	s_or_saveexec_b64 s[14:15], s[14:15]
	v_mov_b32_e32 v12, v10
	s_xor_b64 exec, exec, s[14:15]
	s_cbranch_execz .LBB0_84
; %bb.83:
	ds_read_b32 v12, v15 offset:4
	s_waitcnt lgkmcnt(1)
	v_mov_b32_e32 v11, v9
.LBB0_84:
	s_or_b64 exec, exec, s[14:15]
	v_add_u32_e32 v16, 1, v14
	v_add_u32_e32 v15, 1, v13
	v_cndmask_b32_e64 v16, v16, v14, s[12:13]
	v_cndmask_b32_e64 v15, v13, v15, s[12:13]
	v_cmp_ge_i32_e64 s[16:17], v16, v2
	s_waitcnt lgkmcnt(0)
	v_cmp_gt_i32_e64 s[18:19], v12, v11
	v_cmp_lt_i32_e64 s[14:15], v15, v8
	s_or_b64 s[16:17], s[16:17], s[18:19]
	s_and_b64 s[14:15], s[14:15], s[16:17]
	s_xor_b64 s[16:17], s[14:15], -1
                                        ; implicit-def: $vgpr13
	s_and_saveexec_b64 s[18:19], s[16:17]
	s_xor_b64 s[16:17], exec, s[18:19]
; %bb.85:
	v_lshl_add_u32 v13, v16, 2, v5
	ds_read_b32 v13, v13 offset:4
; %bb.86:
	s_or_saveexec_b64 s[16:17], s[16:17]
	v_mov_b32_e32 v14, v12
	s_xor_b64 exec, exec, s[16:17]
	s_cbranch_execz .LBB0_88
; %bb.87:
	s_waitcnt lgkmcnt(0)
	v_lshl_add_u32 v13, v15, 2, v5
	ds_read_b32 v14, v13 offset:4
	v_mov_b32_e32 v13, v11
.LBB0_88:
	s_or_b64 exec, exec, s[16:17]
	v_add_u32_e32 v18, 1, v16
	v_add_u32_e32 v17, 1, v15
	v_cndmask_b32_e64 v18, v18, v16, s[14:15]
	v_cndmask_b32_e64 v17, v15, v17, s[14:15]
	v_cmp_ge_i32_e64 s[18:19], v18, v2
	s_waitcnt lgkmcnt(0)
	v_cmp_gt_i32_e64 s[20:21], v14, v13
	v_cmp_lt_i32_e64 s[16:17], v17, v8
	s_or_b64 s[18:19], s[18:19], s[20:21]
	s_and_b64 s[16:17], s[16:17], s[18:19]
	s_xor_b64 s[18:19], s[16:17], -1
                                        ; implicit-def: $vgpr15
	s_and_saveexec_b64 s[20:21], s[18:19]
	s_xor_b64 s[18:19], exec, s[20:21]
; %bb.89:
	v_lshl_add_u32 v15, v18, 2, v5
	ds_read_b32 v15, v15 offset:4
; %bb.90:
	s_or_saveexec_b64 s[18:19], s[18:19]
	v_mov_b32_e32 v16, v14
	s_xor_b64 exec, exec, s[18:19]
	s_cbranch_execz .LBB0_92
; %bb.91:
	s_waitcnt lgkmcnt(0)
	v_lshl_add_u32 v15, v17, 2, v5
	ds_read_b32 v16, v15 offset:4
	v_mov_b32_e32 v15, v13
.LBB0_92:
	s_or_b64 exec, exec, s[18:19]
	v_add_u32_e32 v20, 1, v18
	v_add_u32_e32 v19, 1, v17
	v_cndmask_b32_e64 v20, v20, v18, s[16:17]
	v_cndmask_b32_e64 v19, v17, v19, s[16:17]
	v_cmp_ge_i32_e64 s[20:21], v20, v2
	s_waitcnt lgkmcnt(0)
	v_cmp_gt_i32_e64 s[22:23], v16, v15
	v_cmp_lt_i32_e64 s[18:19], v19, v8
	s_or_b64 s[20:21], s[20:21], s[22:23]
	s_and_b64 s[18:19], s[18:19], s[20:21]
	s_xor_b64 s[20:21], s[18:19], -1
                                        ; implicit-def: $vgpr17
	s_and_saveexec_b64 s[22:23], s[20:21]
	s_xor_b64 s[20:21], exec, s[22:23]
; %bb.93:
	v_lshl_add_u32 v17, v20, 2, v5
	ds_read_b32 v17, v17 offset:4
; %bb.94:
	s_or_saveexec_b64 s[20:21], s[20:21]
	v_mov_b32_e32 v18, v16
	s_xor_b64 exec, exec, s[20:21]
	s_cbranch_execz .LBB0_96
; %bb.95:
	s_waitcnt lgkmcnt(0)
	v_lshl_add_u32 v17, v19, 2, v5
	ds_read_b32 v18, v17 offset:4
	v_mov_b32_e32 v17, v15
.LBB0_96:
	s_or_b64 exec, exec, s[20:21]
	v_add_u32_e32 v22, 1, v20
	v_add_u32_e32 v21, 1, v19
	v_cndmask_b32_e64 v22, v22, v20, s[18:19]
	v_cndmask_b32_e64 v21, v19, v21, s[18:19]
	v_cmp_ge_i32_e64 s[22:23], v22, v2
	s_waitcnt lgkmcnt(0)
	v_cmp_gt_i32_e64 s[24:25], v18, v17
	v_cmp_lt_i32_e64 s[20:21], v21, v8
	s_or_b64 s[22:23], s[22:23], s[24:25]
	s_and_b64 s[20:21], s[20:21], s[22:23]
	s_xor_b64 s[22:23], s[20:21], -1
                                        ; implicit-def: $vgpr19
	s_and_saveexec_b64 s[24:25], s[22:23]
	s_xor_b64 s[22:23], exec, s[24:25]
; %bb.97:
	v_lshl_add_u32 v19, v22, 2, v5
	ds_read_b32 v19, v19 offset:4
; %bb.98:
	s_or_saveexec_b64 s[22:23], s[22:23]
	v_mov_b32_e32 v20, v18
	s_xor_b64 exec, exec, s[22:23]
	s_cbranch_execz .LBB0_100
; %bb.99:
	s_waitcnt lgkmcnt(0)
	v_lshl_add_u32 v19, v21, 2, v5
	ds_read_b32 v20, v19 offset:4
	v_mov_b32_e32 v19, v17
.LBB0_100:
	s_or_b64 exec, exec, s[22:23]
	v_add_u32_e32 v24, 1, v22
	v_add_u32_e32 v23, 1, v21
	v_cndmask_b32_e64 v22, v24, v22, s[20:21]
	v_cndmask_b32_e64 v21, v21, v23, s[20:21]
	v_cmp_ge_i32_e64 s[24:25], v22, v2
	s_waitcnt lgkmcnt(0)
	v_cmp_gt_i32_e64 s[26:27], v20, v19
	v_cmp_lt_i32_e64 s[22:23], v21, v8
	s_or_b64 s[24:25], s[24:25], s[26:27]
	s_and_b64 s[22:23], s[22:23], s[24:25]
	s_xor_b64 s[24:25], s[22:23], -1
                                        ; implicit-def: $vgpr23
	s_and_saveexec_b64 s[26:27], s[24:25]
	s_xor_b64 s[24:25], exec, s[26:27]
; %bb.101:
	v_lshl_add_u32 v23, v22, 2, v5
	ds_read_b32 v23, v23 offset:4
; %bb.102:
	s_or_saveexec_b64 s[24:25], s[24:25]
	v_mov_b32_e32 v24, v20
	s_xor_b64 exec, exec, s[24:25]
	s_cbranch_execz .LBB0_104
; %bb.103:
	s_waitcnt lgkmcnt(0)
	v_lshl_add_u32 v23, v21, 2, v5
	ds_read_b32 v24, v23 offset:4
	v_mov_b32_e32 v23, v19
.LBB0_104:
	s_or_b64 exec, exec, s[24:25]
	v_cndmask_b32_e64 v19, v19, v20, s[22:23]
	v_add_u32_e32 v20, 1, v21
	v_add_u32_e32 v25, 1, v22
	v_cndmask_b32_e64 v20, v21, v20, s[22:23]
	v_cndmask_b32_e64 v21, v25, v22, s[22:23]
	;; [unrolled: 1-line block ×4, first 2 shown]
	v_cmp_ge_i32_e64 s[14:15], v21, v2
	s_waitcnt lgkmcnt(0)
	v_cmp_gt_i32_e64 s[16:17], v24, v23
	v_cndmask_b32_e64 v9, v9, v10, s[12:13]
	v_cmp_lt_i32_e64 s[12:13], v20, v8
	s_or_b64 s[14:15], s[14:15], s[16:17]
	s_and_b64 s[12:13], s[12:13], s[14:15]
	v_cndmask_b32_e64 v2, v23, v24, s[12:13]
	v_cndmask_b32_e64 v17, v17, v18, s[20:21]
	;; [unrolled: 1-line block ×3, first 2 shown]
	; wave barrier
	ds_write2_b32 v7, v9, v11 offset1:1
	ds_write2_b32 v7, v13, v15 offset0:2 offset1:3
	ds_write2_b32 v7, v17, v19 offset0:4 offset1:5
	ds_write_b32 v7, v2 offset:24
	v_and_b32_e32 v2, 16, v6
	v_mul_u32_u24_e32 v2, 7, v2
	v_min_i32_e32 v10, v3, v2
	v_and_b32_e32 v6, 15, v6
	v_add_u32_e32 v2, 56, v10
	v_mul_u32_u24_e32 v6, 7, v6
	v_min_i32_e32 v2, v3, v2
	v_min_i32_e32 v8, v3, v6
	v_add_u32_e32 v6, 56, v2
	v_min_i32_e32 v6, v3, v6
	v_sub_u32_e32 v11, v6, v2
	v_sub_u32_e32 v12, v2, v10
	;; [unrolled: 1-line block ×3, first 2 shown]
	v_cmp_ge_i32_e64 s[12:13], v8, v11
	v_cndmask_b32_e64 v11, 0, v13, s[12:13]
	v_min_i32_e32 v12, v8, v12
	v_lshl_add_u32 v9, v10, 2, v5
	v_cmp_lt_i32_e64 s[12:13], v11, v12
	; wave barrier
	s_and_saveexec_b64 s[14:15], s[12:13]
	s_cbranch_execz .LBB0_108
; %bb.105:
	v_lshlrev_b32_e32 v13, 2, v2
	v_lshlrev_b32_e32 v14, 2, v8
	v_add3_u32 v13, v5, v13, v14
	s_mov_b64 s[16:17], 0
.LBB0_106:                              ; =>This Inner Loop Header: Depth=1
	v_sub_u32_e32 v14, v12, v11
	v_lshrrev_b32_e32 v14, 1, v14
	v_add_u32_e32 v14, v14, v11
	v_not_b32_e32 v16, v14
	v_lshl_add_u32 v15, v14, 2, v9
	v_lshl_add_u32 v16, v16, 2, v13
	ds_read_b32 v15, v15
	ds_read_b32 v16, v16
	v_add_u32_e32 v17, 1, v14
	s_waitcnt lgkmcnt(0)
	v_cmp_gt_i32_e64 s[12:13], v16, v15
	v_cndmask_b32_e64 v12, v12, v14, s[12:13]
	v_cndmask_b32_e64 v11, v17, v11, s[12:13]
	v_cmp_ge_i32_e64 s[12:13], v11, v12
	s_or_b64 s[16:17], s[12:13], s[16:17]
	s_andn2_b64 exec, exec, s[16:17]
	s_cbranch_execnz .LBB0_106
; %bb.107:
	s_or_b64 exec, exec, s[16:17]
.LBB0_108:
	s_or_b64 exec, exec, s[14:15]
	v_add_u32_e32 v8, v2, v8
	v_sub_u32_e32 v12, v8, v11
	v_lshl_add_u32 v15, v11, 2, v9
	v_lshl_add_u32 v14, v12, 2, v5
	ds_read_b32 v8, v15
	ds_read_b32 v9, v14
	v_add_u32_e32 v13, v11, v10
	v_cmp_le_i32_e64 s[14:15], v2, v13
	v_cmp_gt_i32_e64 s[12:13], v6, v12
                                        ; implicit-def: $vgpr10
	s_waitcnt lgkmcnt(0)
	v_cmp_gt_i32_e64 s[16:17], v9, v8
	s_or_b64 s[14:15], s[14:15], s[16:17]
	s_and_b64 s[12:13], s[12:13], s[14:15]
	s_xor_b64 s[14:15], s[12:13], -1
	s_and_saveexec_b64 s[16:17], s[14:15]
	s_xor_b64 s[14:15], exec, s[16:17]
; %bb.109:
	ds_read_b32 v10, v15 offset:4
                                        ; implicit-def: $vgpr14
; %bb.110:
	s_or_saveexec_b64 s[14:15], s[14:15]
	v_mov_b32_e32 v11, v9
	s_xor_b64 exec, exec, s[14:15]
	s_cbranch_execz .LBB0_112
; %bb.111:
	ds_read_b32 v11, v14 offset:4
	s_waitcnt lgkmcnt(1)
	v_mov_b32_e32 v10, v8
.LBB0_112:
	s_or_b64 exec, exec, s[14:15]
	v_add_u32_e32 v15, 1, v13
	v_add_u32_e32 v14, 1, v12
	v_cndmask_b32_e64 v15, v15, v13, s[12:13]
	v_cndmask_b32_e64 v14, v12, v14, s[12:13]
	v_cmp_ge_i32_e64 s[16:17], v15, v2
	s_waitcnt lgkmcnt(0)
	v_cmp_gt_i32_e64 s[18:19], v11, v10
	v_cmp_lt_i32_e64 s[14:15], v14, v6
	s_or_b64 s[16:17], s[16:17], s[18:19]
	s_and_b64 s[14:15], s[14:15], s[16:17]
	s_xor_b64 s[16:17], s[14:15], -1
                                        ; implicit-def: $vgpr12
	s_and_saveexec_b64 s[18:19], s[16:17]
	s_xor_b64 s[16:17], exec, s[18:19]
; %bb.113:
	v_lshl_add_u32 v12, v15, 2, v5
	ds_read_b32 v12, v12 offset:4
; %bb.114:
	s_or_saveexec_b64 s[16:17], s[16:17]
	v_mov_b32_e32 v13, v11
	s_xor_b64 exec, exec, s[16:17]
	s_cbranch_execz .LBB0_116
; %bb.115:
	s_waitcnt lgkmcnt(0)
	v_lshl_add_u32 v12, v14, 2, v5
	ds_read_b32 v13, v12 offset:4
	v_mov_b32_e32 v12, v10
.LBB0_116:
	s_or_b64 exec, exec, s[16:17]
	v_add_u32_e32 v17, 1, v15
	v_add_u32_e32 v16, 1, v14
	v_cndmask_b32_e64 v17, v17, v15, s[14:15]
	v_cndmask_b32_e64 v16, v14, v16, s[14:15]
	v_cmp_ge_i32_e64 s[18:19], v17, v2
	s_waitcnt lgkmcnt(0)
	v_cmp_gt_i32_e64 s[20:21], v13, v12
	v_cmp_lt_i32_e64 s[16:17], v16, v6
	s_or_b64 s[18:19], s[18:19], s[20:21]
	s_and_b64 s[16:17], s[16:17], s[18:19]
	s_xor_b64 s[18:19], s[16:17], -1
                                        ; implicit-def: $vgpr14
	s_and_saveexec_b64 s[20:21], s[18:19]
	s_xor_b64 s[18:19], exec, s[20:21]
; %bb.117:
	v_lshl_add_u32 v14, v17, 2, v5
	ds_read_b32 v14, v14 offset:4
; %bb.118:
	s_or_saveexec_b64 s[18:19], s[18:19]
	v_mov_b32_e32 v15, v13
	s_xor_b64 exec, exec, s[18:19]
	s_cbranch_execz .LBB0_120
; %bb.119:
	s_waitcnt lgkmcnt(0)
	v_lshl_add_u32 v14, v16, 2, v5
	ds_read_b32 v15, v14 offset:4
	v_mov_b32_e32 v14, v12
.LBB0_120:
	s_or_b64 exec, exec, s[18:19]
	v_add_u32_e32 v19, 1, v17
	v_add_u32_e32 v18, 1, v16
	v_cndmask_b32_e64 v19, v19, v17, s[16:17]
	v_cndmask_b32_e64 v18, v16, v18, s[16:17]
	v_cmp_ge_i32_e64 s[20:21], v19, v2
	s_waitcnt lgkmcnt(0)
	v_cmp_gt_i32_e64 s[22:23], v15, v14
	v_cmp_lt_i32_e64 s[18:19], v18, v6
	s_or_b64 s[20:21], s[20:21], s[22:23]
	s_and_b64 s[18:19], s[18:19], s[20:21]
	s_xor_b64 s[20:21], s[18:19], -1
                                        ; implicit-def: $vgpr16
	s_and_saveexec_b64 s[22:23], s[20:21]
	s_xor_b64 s[20:21], exec, s[22:23]
; %bb.121:
	v_lshl_add_u32 v16, v19, 2, v5
	ds_read_b32 v16, v16 offset:4
; %bb.122:
	s_or_saveexec_b64 s[20:21], s[20:21]
	v_mov_b32_e32 v17, v15
	s_xor_b64 exec, exec, s[20:21]
	s_cbranch_execz .LBB0_124
; %bb.123:
	s_waitcnt lgkmcnt(0)
	v_lshl_add_u32 v16, v18, 2, v5
	ds_read_b32 v17, v16 offset:4
	v_mov_b32_e32 v16, v14
.LBB0_124:
	s_or_b64 exec, exec, s[20:21]
	v_add_u32_e32 v21, 1, v19
	v_add_u32_e32 v20, 1, v18
	v_cndmask_b32_e64 v21, v21, v19, s[18:19]
	v_cndmask_b32_e64 v20, v18, v20, s[18:19]
	v_cmp_ge_i32_e64 s[22:23], v21, v2
	s_waitcnt lgkmcnt(0)
	v_cmp_gt_i32_e64 s[24:25], v17, v16
	v_cmp_lt_i32_e64 s[20:21], v20, v6
	s_or_b64 s[22:23], s[22:23], s[24:25]
	s_and_b64 s[20:21], s[20:21], s[22:23]
	s_xor_b64 s[22:23], s[20:21], -1
                                        ; implicit-def: $vgpr18
	s_and_saveexec_b64 s[24:25], s[22:23]
	s_xor_b64 s[22:23], exec, s[24:25]
; %bb.125:
	v_lshl_add_u32 v18, v21, 2, v5
	ds_read_b32 v18, v18 offset:4
; %bb.126:
	s_or_saveexec_b64 s[22:23], s[22:23]
	v_mov_b32_e32 v19, v17
	s_xor_b64 exec, exec, s[22:23]
	s_cbranch_execz .LBB0_128
; %bb.127:
	s_waitcnt lgkmcnt(0)
	v_lshl_add_u32 v18, v20, 2, v5
	ds_read_b32 v19, v18 offset:4
	v_mov_b32_e32 v18, v16
.LBB0_128:
	s_or_b64 exec, exec, s[22:23]
	v_add_u32_e32 v23, 1, v21
	v_add_u32_e32 v22, 1, v20
	v_cndmask_b32_e64 v21, v23, v21, s[20:21]
	v_cndmask_b32_e64 v20, v20, v22, s[20:21]
	v_cmp_ge_i32_e64 s[24:25], v21, v2
	s_waitcnt lgkmcnt(0)
	v_cmp_gt_i32_e64 s[26:27], v19, v18
	v_cmp_lt_i32_e64 s[22:23], v20, v6
	s_or_b64 s[24:25], s[24:25], s[26:27]
	s_and_b64 s[22:23], s[22:23], s[24:25]
	s_xor_b64 s[24:25], s[22:23], -1
                                        ; implicit-def: $vgpr22
	s_and_saveexec_b64 s[26:27], s[24:25]
	s_xor_b64 s[24:25], exec, s[26:27]
; %bb.129:
	v_lshl_add_u32 v22, v21, 2, v5
	ds_read_b32 v22, v22 offset:4
; %bb.130:
	s_or_saveexec_b64 s[24:25], s[24:25]
	v_mov_b32_e32 v23, v19
	s_xor_b64 exec, exec, s[24:25]
	s_cbranch_execz .LBB0_132
; %bb.131:
	s_waitcnt lgkmcnt(0)
	v_lshl_add_u32 v22, v20, 2, v5
	ds_read_b32 v23, v22 offset:4
	v_mov_b32_e32 v22, v18
.LBB0_132:
	s_or_b64 exec, exec, s[24:25]
	v_cndmask_b32_e64 v18, v18, v19, s[22:23]
	v_add_u32_e32 v19, 1, v20
	v_add_u32_e32 v24, 1, v21
	v_cndmask_b32_e64 v19, v20, v19, s[22:23]
	v_cndmask_b32_e64 v20, v24, v21, s[22:23]
	;; [unrolled: 1-line block ×4, first 2 shown]
	v_cmp_ge_i32_e64 s[14:15], v20, v2
	s_waitcnt lgkmcnt(0)
	v_cmp_gt_i32_e64 s[16:17], v23, v22
	v_cndmask_b32_e64 v8, v8, v9, s[12:13]
	v_cmp_lt_i32_e64 s[12:13], v19, v6
	s_or_b64 s[14:15], s[14:15], s[16:17]
	s_and_b64 s[12:13], s[12:13], s[14:15]
	v_cndmask_b32_e64 v16, v16, v17, s[20:21]
	v_cndmask_b32_e64 v14, v14, v15, s[18:19]
	v_cndmask_b32_e64 v2, v22, v23, s[12:13]
	; wave barrier
	ds_write2_b32 v7, v8, v10 offset1:1
	ds_write2_b32 v7, v12, v14 offset0:2 offset1:3
	ds_write2_b32 v7, v16, v18 offset0:4 offset1:5
	ds_write_b32 v7, v2 offset:24
	v_min_i32_e32 v7, 0, v3
	v_add_u32_e32 v2, 0x70, v7
	v_min_i32_e32 v2, v3, v2
	v_add_u32_e32 v6, 0x70, v2
	v_min_i32_e32 v4, v3, v4
	v_min_i32_e32 v3, v3, v6
	v_sub_u32_e32 v8, v3, v2
	v_sub_u32_e32 v9, v2, v7
	;; [unrolled: 1-line block ×3, first 2 shown]
	v_cmp_ge_i32_e64 s[12:13], v4, v8
	v_cndmask_b32_e64 v8, 0, v10, s[12:13]
	v_min_i32_e32 v9, v4, v9
	v_lshl_add_u32 v6, v7, 2, v5
	v_cmp_lt_i32_e64 s[12:13], v8, v9
	; wave barrier
	s_and_saveexec_b64 s[14:15], s[12:13]
	s_cbranch_execz .LBB0_136
; %bb.133:
	v_lshlrev_b32_e32 v10, 2, v2
	v_lshlrev_b32_e32 v11, 2, v4
	v_add3_u32 v10, v5, v10, v11
	s_mov_b64 s[16:17], 0
.LBB0_134:                              ; =>This Inner Loop Header: Depth=1
	v_sub_u32_e32 v11, v9, v8
	v_lshrrev_b32_e32 v11, 1, v11
	v_add_u32_e32 v11, v11, v8
	v_not_b32_e32 v13, v11
	v_lshl_add_u32 v12, v11, 2, v6
	v_lshl_add_u32 v13, v13, 2, v10
	ds_read_b32 v12, v12
	ds_read_b32 v13, v13
	v_add_u32_e32 v14, 1, v11
	s_waitcnt lgkmcnt(0)
	v_cmp_gt_i32_e64 s[12:13], v13, v12
	v_cndmask_b32_e64 v9, v9, v11, s[12:13]
	v_cndmask_b32_e64 v8, v14, v8, s[12:13]
	v_cmp_ge_i32_e64 s[12:13], v8, v9
	s_or_b64 s[16:17], s[12:13], s[16:17]
	s_andn2_b64 exec, exec, s[16:17]
	s_cbranch_execnz .LBB0_134
; %bb.135:
	s_or_b64 exec, exec, s[16:17]
.LBB0_136:
	s_or_b64 exec, exec, s[14:15]
	v_add_u32_e32 v4, v2, v4
	v_sub_u32_e32 v9, v4, v8
	v_lshl_add_u32 v12, v8, 2, v6
	v_lshl_add_u32 v11, v9, 2, v5
	ds_read_b32 v4, v12
	ds_read_b32 v6, v11
	v_add_u32_e32 v10, v8, v7
	v_cmp_le_i32_e64 s[14:15], v2, v10
	v_cmp_gt_i32_e64 s[12:13], v3, v9
                                        ; implicit-def: $vgpr7
	s_waitcnt lgkmcnt(0)
	v_cmp_gt_i32_e64 s[16:17], v6, v4
	s_or_b64 s[14:15], s[14:15], s[16:17]
	s_and_b64 s[12:13], s[12:13], s[14:15]
	s_xor_b64 s[14:15], s[12:13], -1
	s_and_saveexec_b64 s[16:17], s[14:15]
	s_xor_b64 s[14:15], exec, s[16:17]
; %bb.137:
	ds_read_b32 v7, v12 offset:4
                                        ; implicit-def: $vgpr11
; %bb.138:
	s_or_saveexec_b64 s[14:15], s[14:15]
	v_mov_b32_e32 v8, v6
	s_xor_b64 exec, exec, s[14:15]
	s_cbranch_execz .LBB0_140
; %bb.139:
	ds_read_b32 v8, v11 offset:4
	s_waitcnt lgkmcnt(1)
	v_mov_b32_e32 v7, v4
.LBB0_140:
	s_or_b64 exec, exec, s[14:15]
	v_add_u32_e32 v12, 1, v10
	v_add_u32_e32 v11, 1, v9
	v_cndmask_b32_e64 v12, v12, v10, s[12:13]
	v_cndmask_b32_e64 v11, v9, v11, s[12:13]
	v_cmp_ge_i32_e64 s[16:17], v12, v2
	s_waitcnt lgkmcnt(0)
	v_cmp_gt_i32_e64 s[18:19], v8, v7
	v_cmp_lt_i32_e64 s[14:15], v11, v3
	s_or_b64 s[16:17], s[16:17], s[18:19]
	s_and_b64 s[14:15], s[14:15], s[16:17]
	s_xor_b64 s[16:17], s[14:15], -1
                                        ; implicit-def: $vgpr9
	s_and_saveexec_b64 s[18:19], s[16:17]
	s_xor_b64 s[16:17], exec, s[18:19]
; %bb.141:
	v_lshl_add_u32 v9, v12, 2, v5
	ds_read_b32 v9, v9 offset:4
; %bb.142:
	s_or_saveexec_b64 s[16:17], s[16:17]
	v_mov_b32_e32 v10, v8
	s_xor_b64 exec, exec, s[16:17]
	s_cbranch_execz .LBB0_144
; %bb.143:
	s_waitcnt lgkmcnt(0)
	v_lshl_add_u32 v9, v11, 2, v5
	ds_read_b32 v10, v9 offset:4
	v_mov_b32_e32 v9, v7
.LBB0_144:
	s_or_b64 exec, exec, s[16:17]
	v_add_u32_e32 v14, 1, v12
	v_add_u32_e32 v13, 1, v11
	v_cndmask_b32_e64 v14, v14, v12, s[14:15]
	v_cndmask_b32_e64 v13, v11, v13, s[14:15]
	v_cmp_ge_i32_e64 s[18:19], v14, v2
	s_waitcnt lgkmcnt(0)
	v_cmp_gt_i32_e64 s[20:21], v10, v9
	v_cmp_lt_i32_e64 s[16:17], v13, v3
	s_or_b64 s[18:19], s[18:19], s[20:21]
	s_and_b64 s[16:17], s[16:17], s[18:19]
	s_xor_b64 s[18:19], s[16:17], -1
                                        ; implicit-def: $vgpr11
	s_and_saveexec_b64 s[20:21], s[18:19]
	s_xor_b64 s[18:19], exec, s[20:21]
; %bb.145:
	v_lshl_add_u32 v11, v14, 2, v5
	ds_read_b32 v11, v11 offset:4
; %bb.146:
	s_or_saveexec_b64 s[18:19], s[18:19]
	v_mov_b32_e32 v12, v10
	s_xor_b64 exec, exec, s[18:19]
	s_cbranch_execz .LBB0_148
; %bb.147:
	s_waitcnt lgkmcnt(0)
	v_lshl_add_u32 v11, v13, 2, v5
	ds_read_b32 v12, v11 offset:4
	v_mov_b32_e32 v11, v9
.LBB0_148:
	s_or_b64 exec, exec, s[18:19]
	v_add_u32_e32 v16, 1, v14
	v_add_u32_e32 v15, 1, v13
	v_cndmask_b32_e64 v16, v16, v14, s[16:17]
	v_cndmask_b32_e64 v15, v13, v15, s[16:17]
	v_cmp_ge_i32_e64 s[20:21], v16, v2
	s_waitcnt lgkmcnt(0)
	v_cmp_gt_i32_e64 s[22:23], v12, v11
	v_cmp_lt_i32_e64 s[18:19], v15, v3
	s_or_b64 s[20:21], s[20:21], s[22:23]
	s_and_b64 s[18:19], s[18:19], s[20:21]
	s_xor_b64 s[20:21], s[18:19], -1
                                        ; implicit-def: $vgpr13
	s_and_saveexec_b64 s[22:23], s[20:21]
	s_xor_b64 s[20:21], exec, s[22:23]
; %bb.149:
	v_lshl_add_u32 v13, v16, 2, v5
	ds_read_b32 v13, v13 offset:4
; %bb.150:
	s_or_saveexec_b64 s[20:21], s[20:21]
	v_mov_b32_e32 v14, v12
	s_xor_b64 exec, exec, s[20:21]
	s_cbranch_execz .LBB0_152
; %bb.151:
	s_waitcnt lgkmcnt(0)
	v_lshl_add_u32 v13, v15, 2, v5
	ds_read_b32 v14, v13 offset:4
	v_mov_b32_e32 v13, v11
.LBB0_152:
	s_or_b64 exec, exec, s[20:21]
	v_add_u32_e32 v18, 1, v16
	v_add_u32_e32 v17, 1, v15
	v_cndmask_b32_e64 v18, v18, v16, s[18:19]
	v_cndmask_b32_e64 v17, v15, v17, s[18:19]
	v_cmp_ge_i32_e64 s[22:23], v18, v2
	s_waitcnt lgkmcnt(0)
	v_cmp_gt_i32_e64 s[24:25], v14, v13
	v_cmp_lt_i32_e64 s[20:21], v17, v3
	s_or_b64 s[22:23], s[22:23], s[24:25]
	s_and_b64 s[20:21], s[20:21], s[22:23]
	s_xor_b64 s[22:23], s[20:21], -1
                                        ; implicit-def: $vgpr15
	s_and_saveexec_b64 s[24:25], s[22:23]
	s_xor_b64 s[22:23], exec, s[24:25]
; %bb.153:
	v_lshl_add_u32 v15, v18, 2, v5
	ds_read_b32 v15, v15 offset:4
; %bb.154:
	s_or_saveexec_b64 s[22:23], s[22:23]
	v_mov_b32_e32 v16, v14
	s_xor_b64 exec, exec, s[22:23]
	s_cbranch_execz .LBB0_156
; %bb.155:
	s_waitcnt lgkmcnt(0)
	v_lshl_add_u32 v15, v17, 2, v5
	ds_read_b32 v16, v15 offset:4
	v_mov_b32_e32 v15, v13
.LBB0_156:
	s_or_b64 exec, exec, s[22:23]
	v_add_u32_e32 v20, 1, v18
	v_add_u32_e32 v19, 1, v17
	v_cndmask_b32_e64 v21, v20, v18, s[20:21]
	v_cndmask_b32_e64 v17, v17, v19, s[20:21]
	v_cmp_ge_i32_e64 s[24:25], v21, v2
	s_waitcnt lgkmcnt(0)
	v_cmp_gt_i32_e64 s[26:27], v16, v15
	v_cmp_lt_i32_e64 s[22:23], v17, v3
	s_or_b64 s[24:25], s[24:25], s[26:27]
	s_and_b64 s[22:23], s[22:23], s[24:25]
	s_xor_b64 s[24:25], s[22:23], -1
                                        ; implicit-def: $vgpr18
                                        ; implicit-def: $vgpr19
	s_and_saveexec_b64 s[26:27], s[24:25]
	s_xor_b64 s[24:25], exec, s[26:27]
	s_cbranch_execnz .LBB0_166
; %bb.157:
	s_or_saveexec_b64 s[24:25], s[24:25]
	v_mov_b32_e32 v20, v16
	s_xor_b64 exec, exec, s[24:25]
	s_cbranch_execnz .LBB0_167
.LBB0_158:
	s_or_b64 exec, exec, s[24:25]
	s_and_saveexec_b64 s[24:25], vcc
	s_cbranch_execnz .LBB0_168
.LBB0_159:
	s_or_b64 exec, exec, s[24:25]
	s_and_saveexec_b64 s[12:13], s[0:1]
	s_cbranch_execnz .LBB0_169
.LBB0_160:
	s_or_b64 exec, exec, s[12:13]
	s_and_saveexec_b64 s[0:1], s[2:3]
	s_cbranch_execnz .LBB0_170
.LBB0_161:
	s_or_b64 exec, exec, s[0:1]
	s_and_saveexec_b64 s[0:1], s[4:5]
	s_cbranch_execnz .LBB0_171
.LBB0_162:
	s_or_b64 exec, exec, s[0:1]
	s_and_saveexec_b64 s[0:1], s[6:7]
	s_cbranch_execnz .LBB0_172
.LBB0_163:
	s_or_b64 exec, exec, s[0:1]
	s_and_saveexec_b64 s[0:1], s[8:9]
	s_cbranch_execnz .LBB0_173
.LBB0_164:
	s_or_b64 exec, exec, s[0:1]
	s_and_saveexec_b64 s[0:1], s[10:11]
	s_cbranch_execnz .LBB0_174
.LBB0_165:
	s_endpgm
.LBB0_166:
	v_lshl_add_u32 v5, v21, 2, v5
	ds_read_b32 v18, v5 offset:4
	v_add_u32_e32 v19, 1, v21
                                        ; implicit-def: $vgpr5
                                        ; implicit-def: $vgpr21
	s_or_saveexec_b64 s[24:25], s[24:25]
	v_mov_b32_e32 v20, v16
	s_xor_b64 exec, exec, s[24:25]
	s_cbranch_execz .LBB0_158
.LBB0_167:
	v_lshl_add_u32 v5, v17, 2, v5
	ds_read_b32 v20, v5 offset:4
	v_add_u32_e32 v17, 1, v17
	v_mov_b32_e32 v19, v21
	s_waitcnt lgkmcnt(1)
	v_mov_b32_e32 v18, v15
	s_or_b64 exec, exec, s[24:25]
	s_and_saveexec_b64 s[24:25], vcc
	s_cbranch_execz .LBB0_159
.LBB0_168:
	v_cndmask_b32_e64 v4, v4, v6, s[12:13]
	global_store_dword v[0:1], v4, off
	s_or_b64 exec, exec, s[24:25]
	s_and_saveexec_b64 s[12:13], s[0:1]
	s_cbranch_execz .LBB0_160
.LBB0_169:
	v_cndmask_b32_e64 v4, v7, v8, s[14:15]
	global_store_dword v[0:1], v4, off offset:4
	s_or_b64 exec, exec, s[12:13]
	s_and_saveexec_b64 s[0:1], s[2:3]
	s_cbranch_execz .LBB0_161
.LBB0_170:
	v_cndmask_b32_e64 v4, v9, v10, s[16:17]
	global_store_dword v[0:1], v4, off offset:8
	s_or_b64 exec, exec, s[0:1]
	s_and_saveexec_b64 s[0:1], s[4:5]
	s_cbranch_execz .LBB0_162
.LBB0_171:
	v_cndmask_b32_e64 v4, v11, v12, s[18:19]
	global_store_dword v[0:1], v4, off offset:12
	s_or_b64 exec, exec, s[0:1]
	s_and_saveexec_b64 s[0:1], s[6:7]
	s_cbranch_execz .LBB0_163
.LBB0_172:
	v_cndmask_b32_e64 v4, v13, v14, s[20:21]
	global_store_dword v[0:1], v4, off offset:16
	s_or_b64 exec, exec, s[0:1]
	s_and_saveexec_b64 s[0:1], s[8:9]
	s_cbranch_execz .LBB0_164
.LBB0_173:
	v_cndmask_b32_e64 v4, v15, v16, s[22:23]
	global_store_dword v[0:1], v4, off offset:20
	s_or_b64 exec, exec, s[0:1]
	s_and_saveexec_b64 s[0:1], s[10:11]
	s_cbranch_execz .LBB0_165
.LBB0_174:
	v_cmp_ge_i32_e64 s[0:1], v19, v2
	s_waitcnt lgkmcnt(0)
	v_cmp_gt_i32_e64 s[2:3], v20, v18
	v_cmp_lt_i32_e32 vcc, v17, v3
	s_or_b64 s[0:1], s[0:1], s[2:3]
	s_and_b64 vcc, vcc, s[0:1]
	v_cndmask_b32_e32 v2, v18, v20, vcc
	global_store_dword v[0:1], v2, off offset:24
	s_endpgm
	.section	.rodata,"a",@progbits
	.p2align	6, 0x0
	.amdhsa_kernel _Z19sort_keys_segmentedILj256ELj32ELj7ELb0EiN10test_utils7greaterEEvPT3_PKjT4_
		.amdhsa_group_segment_fixed_size 7200
		.amdhsa_private_segment_fixed_size 0
		.amdhsa_kernarg_size 20
		.amdhsa_user_sgpr_count 6
		.amdhsa_user_sgpr_private_segment_buffer 1
		.amdhsa_user_sgpr_dispatch_ptr 0
		.amdhsa_user_sgpr_queue_ptr 0
		.amdhsa_user_sgpr_kernarg_segment_ptr 1
		.amdhsa_user_sgpr_dispatch_id 0
		.amdhsa_user_sgpr_flat_scratch_init 0
		.amdhsa_user_sgpr_private_segment_size 0
		.amdhsa_uses_dynamic_stack 0
		.amdhsa_system_sgpr_private_segment_wavefront_offset 0
		.amdhsa_system_sgpr_workgroup_id_x 1
		.amdhsa_system_sgpr_workgroup_id_y 0
		.amdhsa_system_sgpr_workgroup_id_z 0
		.amdhsa_system_sgpr_workgroup_info 0
		.amdhsa_system_vgpr_workitem_id 0
		.amdhsa_next_free_vgpr 26
		.amdhsa_next_free_sgpr 61
		.amdhsa_reserve_vcc 1
		.amdhsa_reserve_flat_scratch 0
		.amdhsa_float_round_mode_32 0
		.amdhsa_float_round_mode_16_64 0
		.amdhsa_float_denorm_mode_32 3
		.amdhsa_float_denorm_mode_16_64 3
		.amdhsa_dx10_clamp 1
		.amdhsa_ieee_mode 1
		.amdhsa_fp16_overflow 0
		.amdhsa_exception_fp_ieee_invalid_op 0
		.amdhsa_exception_fp_denorm_src 0
		.amdhsa_exception_fp_ieee_div_zero 0
		.amdhsa_exception_fp_ieee_overflow 0
		.amdhsa_exception_fp_ieee_underflow 0
		.amdhsa_exception_fp_ieee_inexact 0
		.amdhsa_exception_int_div_zero 0
	.end_amdhsa_kernel
	.section	.text._Z19sort_keys_segmentedILj256ELj32ELj7ELb0EiN10test_utils7greaterEEvPT3_PKjT4_,"axG",@progbits,_Z19sort_keys_segmentedILj256ELj32ELj7ELb0EiN10test_utils7greaterEEvPT3_PKjT4_,comdat
.Lfunc_end0:
	.size	_Z19sort_keys_segmentedILj256ELj32ELj7ELb0EiN10test_utils7greaterEEvPT3_PKjT4_, .Lfunc_end0-_Z19sort_keys_segmentedILj256ELj32ELj7ELb0EiN10test_utils7greaterEEvPT3_PKjT4_
                                        ; -- End function
	.set _Z19sort_keys_segmentedILj256ELj32ELj7ELb0EiN10test_utils7greaterEEvPT3_PKjT4_.num_vgpr, 26
	.set _Z19sort_keys_segmentedILj256ELj32ELj7ELb0EiN10test_utils7greaterEEvPT3_PKjT4_.num_agpr, 0
	.set _Z19sort_keys_segmentedILj256ELj32ELj7ELb0EiN10test_utils7greaterEEvPT3_PKjT4_.numbered_sgpr, 28
	.set _Z19sort_keys_segmentedILj256ELj32ELj7ELb0EiN10test_utils7greaterEEvPT3_PKjT4_.num_named_barrier, 0
	.set _Z19sort_keys_segmentedILj256ELj32ELj7ELb0EiN10test_utils7greaterEEvPT3_PKjT4_.private_seg_size, 0
	.set _Z19sort_keys_segmentedILj256ELj32ELj7ELb0EiN10test_utils7greaterEEvPT3_PKjT4_.uses_vcc, 1
	.set _Z19sort_keys_segmentedILj256ELj32ELj7ELb0EiN10test_utils7greaterEEvPT3_PKjT4_.uses_flat_scratch, 0
	.set _Z19sort_keys_segmentedILj256ELj32ELj7ELb0EiN10test_utils7greaterEEvPT3_PKjT4_.has_dyn_sized_stack, 0
	.set _Z19sort_keys_segmentedILj256ELj32ELj7ELb0EiN10test_utils7greaterEEvPT3_PKjT4_.has_recursion, 0
	.set _Z19sort_keys_segmentedILj256ELj32ELj7ELb0EiN10test_utils7greaterEEvPT3_PKjT4_.has_indirect_call, 0
	.section	.AMDGPU.csdata,"",@progbits
; Kernel info:
; codeLenInByte = 7312
; TotalNumSgprs: 32
; NumVgprs: 26
; ScratchSize: 0
; MemoryBound: 0
; FloatMode: 240
; IeeeMode: 1
; LDSByteSize: 7200 bytes/workgroup (compile time only)
; SGPRBlocks: 8
; VGPRBlocks: 6
; NumSGPRsForWavesPerEU: 65
; NumVGPRsForWavesPerEU: 26
; Occupancy: 9
; WaveLimiterHint : 0
; COMPUTE_PGM_RSRC2:SCRATCH_EN: 0
; COMPUTE_PGM_RSRC2:USER_SGPR: 6
; COMPUTE_PGM_RSRC2:TRAP_HANDLER: 0
; COMPUTE_PGM_RSRC2:TGID_X_EN: 1
; COMPUTE_PGM_RSRC2:TGID_Y_EN: 0
; COMPUTE_PGM_RSRC2:TGID_Z_EN: 0
; COMPUTE_PGM_RSRC2:TIDIG_COMP_CNT: 0
	.section	.text._Z19sort_keys_segmentedILj256ELj8ELj4ELb1ExN10test_utils4lessEEvPT3_PKjT4_,"axG",@progbits,_Z19sort_keys_segmentedILj256ELj8ELj4ELb1ExN10test_utils4lessEEvPT3_PKjT4_,comdat
	.protected	_Z19sort_keys_segmentedILj256ELj8ELj4ELb1ExN10test_utils4lessEEvPT3_PKjT4_ ; -- Begin function _Z19sort_keys_segmentedILj256ELj8ELj4ELb1ExN10test_utils4lessEEvPT3_PKjT4_
	.globl	_Z19sort_keys_segmentedILj256ELj8ELj4ELb1ExN10test_utils4lessEEvPT3_PKjT4_
	.p2align	8
	.type	_Z19sort_keys_segmentedILj256ELj8ELj4ELb1ExN10test_utils4lessEEvPT3_PKjT4_,@function
_Z19sort_keys_segmentedILj256ELj8ELj4ELb1ExN10test_utils4lessEEvPT3_PKjT4_: ; @_Z19sort_keys_segmentedILj256ELj8ELj4ELb1ExN10test_utils4lessEEvPT3_PKjT4_
; %bb.0:
	s_load_dwordx4 s[0:3], s[4:5], 0x0
	v_lshrrev_b32_e32 v14, 3, v0
	v_lshl_or_b32 v0, s6, 5, v14
	v_mov_b32_e32 v1, 0
	v_lshlrev_b64 v[2:3], 2, v[0:1]
	s_waitcnt lgkmcnt(0)
	v_mov_b32_e32 v4, s3
	v_add_co_u32_e32 v2, vcc, s2, v2
	v_addc_co_u32_e32 v3, vcc, v4, v3, vcc
	global_load_dword v18, v[2:3], off
	v_mbcnt_lo_u32_b32 v2, -1, 0
	v_mbcnt_hi_u32_b32 v7, -1, v2
	v_lshlrev_b32_e32 v0, 5, v0
	v_lshlrev_b32_e32 v22, 2, v7
	v_lshlrev_b64 v[7:8], 3, v[0:1]
	v_and_b32_e32 v19, 28, v22
	v_mov_b32_e32 v9, s1
	v_add_co_u32_e32 v7, vcc, s0, v7
	v_lshlrev_b32_e32 v15, 3, v19
	v_addc_co_u32_e32 v9, vcc, v9, v8, vcc
	v_add_co_u32_e32 v8, vcc, v7, v15
	v_addc_co_u32_e32 v9, vcc, 0, v9, vcc
	v_mov_b32_e32 v2, v1
	v_mov_b32_e32 v3, v1
	;; [unrolled: 1-line block ×7, first 2 shown]
	s_waitcnt vmcnt(0)
	v_cmp_lt_u32_e32 vcc, v19, v18
	s_and_saveexec_b64 s[0:1], vcc
	s_cbranch_execz .LBB1_2
; %bb.1:
	global_load_dwordx2 v[23:24], v[8:9], off
	v_mov_b32_e32 v25, v1
	v_mov_b32_e32 v26, v1
	;; [unrolled: 1-line block ×6, first 2 shown]
	s_waitcnt vmcnt(0)
	v_mov_b32_e32 v0, v23
	v_mov_b32_e32 v1, v24
	;; [unrolled: 1-line block ×8, first 2 shown]
.LBB1_2:
	s_or_b64 exec, exec, s[0:1]
	v_or_b32_e32 v10, 1, v19
	v_cmp_lt_u32_e64 s[0:1], v10, v18
	s_and_saveexec_b64 s[2:3], s[0:1]
	s_cbranch_execz .LBB1_4
; %bb.3:
	global_load_dwordx2 v[2:3], v[8:9], off offset:8
.LBB1_4:
	s_or_b64 exec, exec, s[2:3]
	v_or_b32_e32 v11, 2, v19
	v_cmp_lt_u32_e64 s[2:3], v11, v18
	s_and_saveexec_b64 s[4:5], s[2:3]
	s_cbranch_execz .LBB1_6
; %bb.5:
	global_load_dwordx2 v[4:5], v[8:9], off offset:16
.LBB1_6:
	;; [unrolled: 8-line block ×3, first 2 shown]
	s_or_b64 exec, exec, s[6:7]
	v_cmp_lt_i32_e64 s[8:9], v11, v18
	v_cmp_lt_i32_e64 s[10:11], v12, v18
	v_cmp_lt_i32_e64 s[6:7], v10, v18
	s_or_b64 s[8:9], s[10:11], s[8:9]
	v_bfrev_b32_e32 v10, -2
	s_or_b64 s[6:7], s[8:9], s[6:7]
	s_waitcnt vmcnt(0)
	v_cndmask_b32_e64 v7, v10, v7, s[10:11]
	v_cndmask_b32_e64 v5, v10, v5, s[8:9]
	v_cndmask_b32_e64 v4, -1, v4, s[8:9]
	v_cndmask_b32_e64 v3, v10, v3, s[6:7]
	v_cndmask_b32_e64 v2, -1, v2, s[6:7]
	v_cndmask_b32_e64 v6, -1, v6, s[10:11]
	v_cmp_lt_i32_e64 s[6:7], v19, v18
	s_and_saveexec_b64 s[10:11], s[6:7]
	s_cbranch_execz .LBB1_12
; %bb.9:
	v_cmp_lt_i64_e64 s[6:7], v[2:3], v[0:1]
	v_cmp_gt_i64_e64 s[8:9], v[6:7], v[4:5]
	v_cndmask_b32_e64 v20, v3, v1, s[6:7]
	v_cndmask_b32_e64 v21, v2, v0, s[6:7]
	;; [unrolled: 1-line block ×4, first 2 shown]
	v_cmp_gt_i64_e64 s[6:7], v[2:3], v[0:1]
	v_cndmask_b32_e64 v17, v5, v7, s[8:9]
	v_cndmask_b32_e64 v13, v1, v3, s[6:7]
	;; [unrolled: 1-line block ×3, first 2 shown]
	v_cmp_lt_i64_e64 s[6:7], v[6:7], v[4:5]
	v_cndmask_b32_e64 v16, v4, v6, s[8:9]
	v_cndmask_b32_e64 v1, v5, v7, s[6:7]
	v_cndmask_b32_e64 v0, v4, v6, s[6:7]
	v_cndmask_b32_e64 v23, v6, v4, s[6:7]
	v_cndmask_b32_e64 v24, v7, v5, s[6:7]
	v_cmp_lt_i64_e64 s[6:7], v[0:1], v[12:13]
	v_cmp_gt_i64_e64 s[8:9], v[0:1], v[12:13]
	v_cndmask_b32_e64 v4, v0, v12, s[6:7]
	v_cndmask_b32_e64 v5, v1, v13, s[6:7]
	;; [unrolled: 1-line block ×6, first 2 shown]
	v_cmp_lt_i64_e64 s[6:7], v[0:1], v[10:11]
	v_cndmask_b32_e64 v20, v12, v0, s[8:9]
	v_cndmask_b32_e64 v21, v13, v1, s[8:9]
	v_cndmask_b32_e64 v3, v3, v11, s[6:7]
	v_cndmask_b32_e64 v2, v2, v10, s[6:7]
	v_cndmask_b32_e64 v1, v11, v7, s[6:7]
	v_cndmask_b32_e64 v0, v10, v6, s[6:7]
	v_cndmask_b32_e64 v11, v7, v11, s[6:7]
	v_cndmask_b32_e64 v10, v6, v10, s[6:7]
	v_cmp_gt_i64_e64 s[6:7], v[12:13], v[16:17]
	v_cndmask_b32_e64 v13, v21, v17, s[6:7]
	v_cndmask_b32_e64 v12, v20, v16, s[6:7]
	v_cmp_lt_i64_e64 s[8:9], v[12:13], v[10:11]
	v_cndmask_b32_e64 v7, v24, v21, s[6:7]
	v_cndmask_b32_e64 v6, v23, v20, s[6:7]
	;; [unrolled: 1-line block ×4, first 2 shown]
	s_and_saveexec_b64 s[6:7], s[8:9]
; %bb.10:
	v_mov_b32_e32 v2, v12
	v_mov_b32_e32 v3, v13
	;; [unrolled: 1-line block ×4, first 2 shown]
; %bb.11:
	s_or_b64 exec, exec, s[6:7]
.LBB1_12:
	s_or_b64 exec, exec, s[10:11]
	s_movk_i32 s6, 0x108
	v_mad_u32_u24 v21, v14, s6, v15
	; wave barrier
	ds_write2_b64 v21, v[0:1], v[2:3] offset1:1
	ds_write2_b64 v21, v[4:5], v[6:7] offset0:2 offset1:3
	v_and_b32_e32 v1, 24, v22
	v_min_i32_e32 v4, v18, v1
	v_add_u32_e32 v1, 4, v4
	v_min_i32_e32 v23, v18, v1
	v_add_u32_e32 v1, 4, v23
	v_and_b32_e32 v0, 4, v22
	v_min_i32_e32 v24, v18, v1
	v_min_i32_e32 v0, v18, v0
	v_sub_u32_e32 v3, v24, v23
	v_lshlrev_b32_e32 v1, 3, v4
	v_sub_u32_e32 v2, v23, v4
	v_mad_u32_u24 v1, v14, s6, v1
	v_sub_u32_e32 v5, v0, v3
	v_cmp_ge_i32_e64 s[6:7], v0, v3
	v_cndmask_b32_e64 v5, 0, v5, s[6:7]
	v_min_i32_e32 v2, v0, v2
	v_mul_u32_u24_e32 v20, 0x108, v14
	v_cmp_lt_i32_e64 s[6:7], v5, v2
	; wave barrier
	s_and_saveexec_b64 s[8:9], s[6:7]
	s_cbranch_execz .LBB1_16
; %bb.13:
	v_lshlrev_b32_e32 v3, 3, v23
	v_lshlrev_b32_e32 v6, 3, v0
	v_add3_u32 v3, v20, v3, v6
	s_mov_b64 s[10:11], 0
.LBB1_14:                               ; =>This Inner Loop Header: Depth=1
	v_sub_u32_e32 v6, v2, v5
	v_lshrrev_b32_e32 v6, 1, v6
	v_add_u32_e32 v12, v6, v5
	v_not_b32_e32 v7, v12
	v_lshl_add_u32 v6, v12, 3, v1
	v_lshl_add_u32 v10, v7, 3, v3
	ds_read_b64 v[6:7], v6
	ds_read_b64 v[10:11], v10
	v_add_u32_e32 v13, 1, v12
	s_waitcnt lgkmcnt(0)
	v_cmp_lt_i64_e64 s[6:7], v[10:11], v[6:7]
	v_cndmask_b32_e64 v2, v2, v12, s[6:7]
	v_cndmask_b32_e64 v5, v13, v5, s[6:7]
	v_cmp_ge_i32_e64 s[6:7], v5, v2
	s_or_b64 s[10:11], s[6:7], s[10:11]
	s_andn2_b64 exec, exec, s[10:11]
	s_cbranch_execnz .LBB1_14
; %bb.15:
	s_or_b64 exec, exec, s[10:11]
.LBB1_16:
	s_or_b64 exec, exec, s[8:9]
	v_add_u32_e32 v0, v23, v0
	v_sub_u32_e32 v10, v0, v5
	v_lshl_add_u32 v6, v5, 3, v1
	v_lshl_add_u32 v12, v10, 3, v20
	ds_read_b64 v[0:1], v6
	ds_read_b64 v[2:3], v12
	v_add_u32_e32 v11, v5, v4
	v_cmp_le_i32_e64 s[10:11], v23, v11
	v_cmp_gt_i32_e64 s[6:7], v24, v10
                                        ; implicit-def: $vgpr4_vgpr5
	s_waitcnt lgkmcnt(0)
	v_cmp_lt_i64_e64 s[8:9], v[2:3], v[0:1]
	s_or_b64 s[8:9], s[10:11], s[8:9]
	s_and_b64 s[6:7], s[6:7], s[8:9]
	s_xor_b64 s[8:9], s[6:7], -1
	s_and_saveexec_b64 s[10:11], s[8:9]
	s_xor_b64 s[8:9], exec, s[10:11]
; %bb.17:
	ds_read_b64 v[4:5], v6 offset:8
                                        ; implicit-def: $vgpr12
; %bb.18:
	s_or_saveexec_b64 s[8:9], s[8:9]
	v_mov_b32_e32 v7, v3
	v_mov_b32_e32 v6, v2
	s_xor_b64 exec, exec, s[8:9]
	s_cbranch_execz .LBB1_20
; %bb.19:
	ds_read_b64 v[6:7], v12 offset:8
	s_waitcnt lgkmcnt(1)
	v_mov_b32_e32 v5, v1
	v_mov_b32_e32 v4, v0
.LBB1_20:
	s_or_b64 exec, exec, s[8:9]
	v_add_u32_e32 v13, 1, v11
	v_add_u32_e32 v12, 1, v10
	v_cndmask_b32_e64 v15, v13, v11, s[6:7]
	s_waitcnt lgkmcnt(0)
	v_cmp_lt_i64_e64 s[10:11], v[6:7], v[4:5]
	v_cndmask_b32_e64 v14, v10, v12, s[6:7]
	v_cmp_ge_i32_e64 s[12:13], v15, v23
	v_cmp_lt_i32_e64 s[8:9], v14, v24
	s_or_b64 s[10:11], s[12:13], s[10:11]
	s_and_b64 s[8:9], s[8:9], s[10:11]
	s_xor_b64 s[10:11], s[8:9], -1
                                        ; implicit-def: $vgpr10_vgpr11
	s_and_saveexec_b64 s[12:13], s[10:11]
	s_xor_b64 s[10:11], exec, s[12:13]
; %bb.21:
	v_lshl_add_u32 v10, v15, 3, v20
	ds_read_b64 v[10:11], v10 offset:8
; %bb.22:
	s_or_saveexec_b64 s[10:11], s[10:11]
	v_mov_b32_e32 v13, v7
	v_mov_b32_e32 v12, v6
	s_xor_b64 exec, exec, s[10:11]
	s_cbranch_execz .LBB1_24
; %bb.23:
	s_waitcnt lgkmcnt(0)
	v_lshl_add_u32 v10, v14, 3, v20
	ds_read_b64 v[12:13], v10 offset:8
	v_mov_b32_e32 v11, v5
	v_mov_b32_e32 v10, v4
.LBB1_24:
	s_or_b64 exec, exec, s[10:11]
	v_add_u32_e32 v17, 1, v15
	v_add_u32_e32 v16, 1, v14
	v_cndmask_b32_e64 v26, v17, v15, s[8:9]
	s_waitcnt lgkmcnt(0)
	v_cmp_lt_i64_e64 s[12:13], v[12:13], v[10:11]
	v_cndmask_b32_e64 v25, v14, v16, s[8:9]
	v_cmp_ge_i32_e64 s[14:15], v26, v23
	v_cmp_lt_i32_e64 s[10:11], v25, v24
	s_or_b64 s[12:13], s[14:15], s[12:13]
	s_and_b64 s[10:11], s[10:11], s[12:13]
	s_xor_b64 s[12:13], s[10:11], -1
                                        ; implicit-def: $vgpr14_vgpr15
	s_and_saveexec_b64 s[14:15], s[12:13]
	s_xor_b64 s[12:13], exec, s[14:15]
; %bb.25:
	v_lshl_add_u32 v14, v26, 3, v20
	ds_read_b64 v[14:15], v14 offset:8
; %bb.26:
	s_or_saveexec_b64 s[12:13], s[12:13]
	v_mov_b32_e32 v17, v13
	v_mov_b32_e32 v16, v12
	s_xor_b64 exec, exec, s[12:13]
	s_cbranch_execz .LBB1_28
; %bb.27:
	s_waitcnt lgkmcnt(0)
	v_lshl_add_u32 v14, v25, 3, v20
	ds_read_b64 v[16:17], v14 offset:8
	v_mov_b32_e32 v15, v11
	v_mov_b32_e32 v14, v10
.LBB1_28:
	s_or_b64 exec, exec, s[12:13]
	v_cndmask_b32_e64 v11, v11, v13, s[10:11]
	v_add_u32_e32 v13, 1, v26
	v_cndmask_b32_e64 v10, v10, v12, s[10:11]
	v_add_u32_e32 v12, 1, v25
	v_cndmask_b32_e64 v13, v13, v26, s[10:11]
	v_cndmask_b32_e64 v5, v5, v7, s[8:9]
	;; [unrolled: 1-line block ×3, first 2 shown]
	s_waitcnt lgkmcnt(0)
	v_cmp_lt_i64_e64 s[8:9], v[16:17], v[14:15]
	v_cndmask_b32_e64 v12, v25, v12, s[10:11]
	v_cmp_ge_i32_e64 s[10:11], v13, v23
	v_cndmask_b32_e64 v1, v1, v3, s[6:7]
	v_cndmask_b32_e64 v0, v0, v2, s[6:7]
	v_cmp_lt_i32_e64 s[6:7], v12, v24
	s_or_b64 s[8:9], s[10:11], s[8:9]
	s_and_b64 s[6:7], s[6:7], s[8:9]
	v_cndmask_b32_e64 v3, v15, v17, s[6:7]
	v_cndmask_b32_e64 v2, v14, v16, s[6:7]
	; wave barrier
	ds_write2_b64 v21, v[0:1], v[4:5] offset1:1
	ds_write2_b64 v21, v[10:11], v[2:3] offset0:2 offset1:3
	v_and_b32_e32 v1, 16, v22
	v_min_i32_e32 v4, v18, v1
	v_add_u32_e32 v1, 8, v4
	v_and_b32_e32 v0, 12, v22
	v_min_i32_e32 v22, v18, v1
	v_add_u32_e32 v1, 8, v22
	v_min_i32_e32 v23, v18, v1
	v_min_i32_e32 v0, v18, v0
	v_sub_u32_e32 v3, v23, v22
	v_sub_u32_e32 v2, v22, v4
	;; [unrolled: 1-line block ×3, first 2 shown]
	v_cmp_ge_i32_e64 s[6:7], v0, v3
	v_cndmask_b32_e64 v5, 0, v5, s[6:7]
	v_min_i32_e32 v2, v0, v2
	v_lshl_add_u32 v1, v4, 3, v20
	v_cmp_lt_i32_e64 s[6:7], v5, v2
	; wave barrier
	s_and_saveexec_b64 s[8:9], s[6:7]
	s_cbranch_execz .LBB1_32
; %bb.29:
	v_lshlrev_b32_e32 v3, 3, v22
	v_lshlrev_b32_e32 v6, 3, v0
	v_add3_u32 v3, v20, v3, v6
	s_mov_b64 s[10:11], 0
.LBB1_30:                               ; =>This Inner Loop Header: Depth=1
	v_sub_u32_e32 v6, v2, v5
	v_lshrrev_b32_e32 v6, 1, v6
	v_add_u32_e32 v12, v6, v5
	v_not_b32_e32 v7, v12
	v_lshl_add_u32 v6, v12, 3, v1
	v_lshl_add_u32 v10, v7, 3, v3
	ds_read_b64 v[6:7], v6
	ds_read_b64 v[10:11], v10
	v_add_u32_e32 v13, 1, v12
	s_waitcnt lgkmcnt(0)
	v_cmp_lt_i64_e64 s[6:7], v[10:11], v[6:7]
	v_cndmask_b32_e64 v2, v2, v12, s[6:7]
	v_cndmask_b32_e64 v5, v13, v5, s[6:7]
	v_cmp_ge_i32_e64 s[6:7], v5, v2
	s_or_b64 s[10:11], s[6:7], s[10:11]
	s_andn2_b64 exec, exec, s[10:11]
	s_cbranch_execnz .LBB1_30
; %bb.31:
	s_or_b64 exec, exec, s[10:11]
.LBB1_32:
	s_or_b64 exec, exec, s[8:9]
	v_add_u32_e32 v0, v22, v0
	v_sub_u32_e32 v10, v0, v5
	v_lshl_add_u32 v6, v5, 3, v1
	v_lshl_add_u32 v12, v10, 3, v20
	ds_read_b64 v[0:1], v6
	ds_read_b64 v[2:3], v12
	v_add_u32_e32 v11, v5, v4
	v_cmp_le_i32_e64 s[10:11], v22, v11
	v_cmp_gt_i32_e64 s[6:7], v23, v10
                                        ; implicit-def: $vgpr4_vgpr5
	s_waitcnt lgkmcnt(0)
	v_cmp_lt_i64_e64 s[8:9], v[2:3], v[0:1]
	s_or_b64 s[8:9], s[10:11], s[8:9]
	s_and_b64 s[6:7], s[6:7], s[8:9]
	s_xor_b64 s[8:9], s[6:7], -1
	s_and_saveexec_b64 s[10:11], s[8:9]
	s_xor_b64 s[8:9], exec, s[10:11]
; %bb.33:
	ds_read_b64 v[4:5], v6 offset:8
                                        ; implicit-def: $vgpr12
; %bb.34:
	s_or_saveexec_b64 s[8:9], s[8:9]
	v_mov_b32_e32 v7, v3
	v_mov_b32_e32 v6, v2
	s_xor_b64 exec, exec, s[8:9]
	s_cbranch_execz .LBB1_36
; %bb.35:
	ds_read_b64 v[6:7], v12 offset:8
	s_waitcnt lgkmcnt(1)
	v_mov_b32_e32 v5, v1
	v_mov_b32_e32 v4, v0
.LBB1_36:
	s_or_b64 exec, exec, s[8:9]
	v_add_u32_e32 v13, 1, v11
	v_add_u32_e32 v12, 1, v10
	v_cndmask_b32_e64 v15, v13, v11, s[6:7]
	s_waitcnt lgkmcnt(0)
	v_cmp_lt_i64_e64 s[10:11], v[6:7], v[4:5]
	v_cndmask_b32_e64 v14, v10, v12, s[6:7]
	v_cmp_ge_i32_e64 s[12:13], v15, v22
	v_cmp_lt_i32_e64 s[8:9], v14, v23
	s_or_b64 s[10:11], s[12:13], s[10:11]
	s_and_b64 s[8:9], s[8:9], s[10:11]
	s_xor_b64 s[10:11], s[8:9], -1
                                        ; implicit-def: $vgpr10_vgpr11
	s_and_saveexec_b64 s[12:13], s[10:11]
	s_xor_b64 s[10:11], exec, s[12:13]
; %bb.37:
	v_lshl_add_u32 v10, v15, 3, v20
	ds_read_b64 v[10:11], v10 offset:8
; %bb.38:
	s_or_saveexec_b64 s[10:11], s[10:11]
	v_mov_b32_e32 v13, v7
	v_mov_b32_e32 v12, v6
	s_xor_b64 exec, exec, s[10:11]
	s_cbranch_execz .LBB1_40
; %bb.39:
	s_waitcnt lgkmcnt(0)
	v_lshl_add_u32 v10, v14, 3, v20
	ds_read_b64 v[12:13], v10 offset:8
	v_mov_b32_e32 v11, v5
	v_mov_b32_e32 v10, v4
.LBB1_40:
	s_or_b64 exec, exec, s[10:11]
	v_add_u32_e32 v17, 1, v15
	v_add_u32_e32 v16, 1, v14
	v_cndmask_b32_e64 v25, v17, v15, s[8:9]
	s_waitcnt lgkmcnt(0)
	v_cmp_lt_i64_e64 s[12:13], v[12:13], v[10:11]
	v_cndmask_b32_e64 v24, v14, v16, s[8:9]
	v_cmp_ge_i32_e64 s[14:15], v25, v22
	v_cmp_lt_i32_e64 s[10:11], v24, v23
	s_or_b64 s[12:13], s[14:15], s[12:13]
	s_and_b64 s[10:11], s[10:11], s[12:13]
	s_xor_b64 s[12:13], s[10:11], -1
                                        ; implicit-def: $vgpr14_vgpr15
	s_and_saveexec_b64 s[14:15], s[12:13]
	s_xor_b64 s[12:13], exec, s[14:15]
; %bb.41:
	v_lshl_add_u32 v14, v25, 3, v20
	ds_read_b64 v[14:15], v14 offset:8
; %bb.42:
	s_or_saveexec_b64 s[12:13], s[12:13]
	v_mov_b32_e32 v17, v13
	v_mov_b32_e32 v16, v12
	s_xor_b64 exec, exec, s[12:13]
	s_cbranch_execz .LBB1_44
; %bb.43:
	s_waitcnt lgkmcnt(0)
	v_lshl_add_u32 v14, v24, 3, v20
	ds_read_b64 v[16:17], v14 offset:8
	v_mov_b32_e32 v15, v11
	v_mov_b32_e32 v14, v10
.LBB1_44:
	s_or_b64 exec, exec, s[12:13]
	v_cndmask_b32_e64 v11, v11, v13, s[10:11]
	v_add_u32_e32 v13, 1, v25
	v_cndmask_b32_e64 v10, v10, v12, s[10:11]
	v_add_u32_e32 v12, 1, v24
	v_cndmask_b32_e64 v13, v13, v25, s[10:11]
	v_cndmask_b32_e64 v5, v5, v7, s[8:9]
	;; [unrolled: 1-line block ×3, first 2 shown]
	s_waitcnt lgkmcnt(0)
	v_cmp_lt_i64_e64 s[8:9], v[16:17], v[14:15]
	v_cndmask_b32_e64 v12, v24, v12, s[10:11]
	v_cmp_ge_i32_e64 s[10:11], v13, v22
	v_cndmask_b32_e64 v1, v1, v3, s[6:7]
	v_cndmask_b32_e64 v0, v0, v2, s[6:7]
	v_cmp_lt_i32_e64 s[6:7], v12, v23
	s_or_b64 s[8:9], s[10:11], s[8:9]
	s_and_b64 s[6:7], s[6:7], s[8:9]
	v_cndmask_b32_e64 v2, v14, v16, s[6:7]
	v_cndmask_b32_e64 v3, v15, v17, s[6:7]
	; wave barrier
	ds_write2_b64 v21, v[0:1], v[4:5] offset1:1
	ds_write2_b64 v21, v[10:11], v[2:3] offset0:2 offset1:3
	v_min_i32_e32 v2, 0, v18
	v_add_u32_e32 v1, 16, v2
	v_min_i32_e32 v0, v18, v19
	v_min_i32_e32 v19, v18, v1
	v_add_u32_e32 v1, 16, v19
	v_min_i32_e32 v18, v18, v1
	v_sub_u32_e32 v3, v18, v19
	v_sub_u32_e32 v4, v19, v2
	;; [unrolled: 1-line block ×3, first 2 shown]
	v_cmp_ge_i32_e64 s[6:7], v0, v3
	v_cndmask_b32_e64 v3, 0, v5, s[6:7]
	v_min_i32_e32 v4, v0, v4
	v_lshl_add_u32 v1, v2, 3, v20
	v_cmp_lt_i32_e64 s[6:7], v3, v4
	; wave barrier
	s_and_saveexec_b64 s[8:9], s[6:7]
	s_cbranch_execz .LBB1_48
; %bb.45:
	v_lshlrev_b32_e32 v5, 3, v19
	v_lshlrev_b32_e32 v6, 3, v0
	v_add3_u32 v5, v20, v5, v6
	s_mov_b64 s[10:11], 0
.LBB1_46:                               ; =>This Inner Loop Header: Depth=1
	v_sub_u32_e32 v6, v4, v3
	v_lshrrev_b32_e32 v6, 1, v6
	v_add_u32_e32 v12, v6, v3
	v_not_b32_e32 v7, v12
	v_lshl_add_u32 v6, v12, 3, v1
	v_lshl_add_u32 v10, v7, 3, v5
	ds_read_b64 v[6:7], v6
	ds_read_b64 v[10:11], v10
	v_add_u32_e32 v13, 1, v12
	s_waitcnt lgkmcnt(0)
	v_cmp_lt_i64_e64 s[6:7], v[10:11], v[6:7]
	v_cndmask_b32_e64 v4, v4, v12, s[6:7]
	v_cndmask_b32_e64 v3, v13, v3, s[6:7]
	v_cmp_ge_i32_e64 s[6:7], v3, v4
	s_or_b64 s[10:11], s[6:7], s[10:11]
	s_andn2_b64 exec, exec, s[10:11]
	s_cbranch_execnz .LBB1_46
; %bb.47:
	s_or_b64 exec, exec, s[10:11]
.LBB1_48:
	s_or_b64 exec, exec, s[8:9]
	v_add_u32_e32 v0, v19, v0
	v_sub_u32_e32 v10, v0, v3
	v_lshl_add_u32 v6, v3, 3, v1
	v_lshl_add_u32 v12, v10, 3, v20
	ds_read_b64 v[0:1], v6
	ds_read_b64 v[4:5], v12
	v_add_u32_e32 v11, v3, v2
	v_cmp_le_i32_e64 s[10:11], v19, v11
	v_cmp_gt_i32_e64 s[6:7], v18, v10
                                        ; implicit-def: $vgpr2_vgpr3
	s_waitcnt lgkmcnt(0)
	v_cmp_lt_i64_e64 s[8:9], v[4:5], v[0:1]
	s_or_b64 s[8:9], s[10:11], s[8:9]
	s_and_b64 s[6:7], s[6:7], s[8:9]
	s_xor_b64 s[8:9], s[6:7], -1
	s_and_saveexec_b64 s[10:11], s[8:9]
	s_xor_b64 s[8:9], exec, s[10:11]
; %bb.49:
	ds_read_b64 v[2:3], v6 offset:8
                                        ; implicit-def: $vgpr12
; %bb.50:
	s_or_saveexec_b64 s[8:9], s[8:9]
	v_mov_b32_e32 v7, v5
	v_mov_b32_e32 v6, v4
	s_xor_b64 exec, exec, s[8:9]
	s_cbranch_execz .LBB1_52
; %bb.51:
	ds_read_b64 v[6:7], v12 offset:8
	s_waitcnt lgkmcnt(1)
	v_mov_b32_e32 v3, v1
	v_mov_b32_e32 v2, v0
.LBB1_52:
	s_or_b64 exec, exec, s[8:9]
	v_add_u32_e32 v13, 1, v11
	v_add_u32_e32 v12, 1, v10
	v_cndmask_b32_e64 v15, v13, v11, s[6:7]
	s_waitcnt lgkmcnt(0)
	v_cmp_lt_i64_e64 s[10:11], v[6:7], v[2:3]
	v_cndmask_b32_e64 v14, v10, v12, s[6:7]
	v_cmp_ge_i32_e64 s[12:13], v15, v19
	v_cmp_lt_i32_e64 s[8:9], v14, v18
	s_or_b64 s[10:11], s[12:13], s[10:11]
	s_and_b64 s[8:9], s[8:9], s[10:11]
	s_xor_b64 s[10:11], s[8:9], -1
                                        ; implicit-def: $vgpr10_vgpr11
	s_and_saveexec_b64 s[12:13], s[10:11]
	s_xor_b64 s[10:11], exec, s[12:13]
; %bb.53:
	v_lshl_add_u32 v10, v15, 3, v20
	ds_read_b64 v[10:11], v10 offset:8
; %bb.54:
	s_or_saveexec_b64 s[10:11], s[10:11]
	v_mov_b32_e32 v13, v7
	v_mov_b32_e32 v12, v6
	s_xor_b64 exec, exec, s[10:11]
	s_cbranch_execz .LBB1_56
; %bb.55:
	s_waitcnt lgkmcnt(0)
	v_lshl_add_u32 v10, v14, 3, v20
	ds_read_b64 v[12:13], v10 offset:8
	v_mov_b32_e32 v11, v3
	v_mov_b32_e32 v10, v2
.LBB1_56:
	s_or_b64 exec, exec, s[10:11]
	v_add_u32_e32 v17, 1, v15
	v_add_u32_e32 v16, 1, v14
	v_cndmask_b32_e64 v23, v17, v15, s[8:9]
	s_waitcnt lgkmcnt(0)
	v_cmp_lt_i64_e64 s[12:13], v[12:13], v[10:11]
	v_cndmask_b32_e64 v21, v14, v16, s[8:9]
	v_cmp_ge_i32_e64 s[14:15], v23, v19
	v_cmp_lt_i32_e64 s[10:11], v21, v18
	s_or_b64 s[12:13], s[14:15], s[12:13]
	s_and_b64 s[10:11], s[10:11], s[12:13]
	s_xor_b64 s[12:13], s[10:11], -1
                                        ; implicit-def: $vgpr14_vgpr15
                                        ; implicit-def: $vgpr22
	s_and_saveexec_b64 s[14:15], s[12:13]
	s_xor_b64 s[12:13], exec, s[14:15]
; %bb.57:
	v_lshl_add_u32 v14, v23, 3, v20
	ds_read_b64 v[14:15], v14 offset:8
	v_add_u32_e32 v22, 1, v23
                                        ; implicit-def: $vgpr20
                                        ; implicit-def: $vgpr23
; %bb.58:
	s_or_saveexec_b64 s[12:13], s[12:13]
	v_mov_b32_e32 v17, v13
	v_mov_b32_e32 v16, v12
	s_xor_b64 exec, exec, s[12:13]
	s_cbranch_execnz .LBB1_64
; %bb.59:
	s_or_b64 exec, exec, s[12:13]
	s_and_saveexec_b64 s[12:13], vcc
	s_cbranch_execnz .LBB1_65
.LBB1_60:
	s_or_b64 exec, exec, s[12:13]
	s_and_saveexec_b64 s[6:7], s[0:1]
	s_cbranch_execnz .LBB1_66
.LBB1_61:
	s_or_b64 exec, exec, s[6:7]
	s_and_saveexec_b64 s[0:1], s[2:3]
	s_cbranch_execnz .LBB1_67
.LBB1_62:
	s_or_b64 exec, exec, s[0:1]
	s_and_saveexec_b64 s[0:1], s[4:5]
	s_cbranch_execnz .LBB1_68
.LBB1_63:
	s_endpgm
.LBB1_64:
	s_waitcnt lgkmcnt(0)
	v_lshl_add_u32 v14, v21, 3, v20
	ds_read_b64 v[16:17], v14 offset:8
	v_mov_b32_e32 v15, v11
	v_add_u32_e32 v21, 1, v21
	v_mov_b32_e32 v22, v23
	v_mov_b32_e32 v14, v10
	s_or_b64 exec, exec, s[12:13]
	s_and_saveexec_b64 s[12:13], vcc
	s_cbranch_execz .LBB1_60
.LBB1_65:
	v_cndmask_b32_e64 v1, v1, v5, s[6:7]
	v_cndmask_b32_e64 v0, v0, v4, s[6:7]
	global_store_dwordx2 v[8:9], v[0:1], off
	s_or_b64 exec, exec, s[12:13]
	s_and_saveexec_b64 s[6:7], s[0:1]
	s_cbranch_execz .LBB1_61
.LBB1_66:
	v_cndmask_b32_e64 v1, v3, v7, s[8:9]
	v_cndmask_b32_e64 v0, v2, v6, s[8:9]
	global_store_dwordx2 v[8:9], v[0:1], off offset:8
	s_or_b64 exec, exec, s[6:7]
	s_and_saveexec_b64 s[0:1], s[2:3]
	s_cbranch_execz .LBB1_62
.LBB1_67:
	v_cndmask_b32_e64 v1, v11, v13, s[10:11]
	v_cndmask_b32_e64 v0, v10, v12, s[10:11]
	global_store_dwordx2 v[8:9], v[0:1], off offset:16
	s_or_b64 exec, exec, s[0:1]
	s_and_saveexec_b64 s[0:1], s[4:5]
	s_cbranch_execz .LBB1_63
.LBB1_68:
	s_waitcnt lgkmcnt(0)
	v_cmp_lt_i64_e64 s[0:1], v[16:17], v[14:15]
	v_cmp_ge_i32_e64 s[2:3], v22, v19
	v_cmp_lt_i32_e32 vcc, v21, v18
	s_or_b64 s[0:1], s[2:3], s[0:1]
	s_and_b64 vcc, vcc, s[0:1]
	v_cndmask_b32_e32 v1, v15, v17, vcc
	v_cndmask_b32_e32 v0, v14, v16, vcc
	global_store_dwordx2 v[8:9], v[0:1], off offset:24
	s_endpgm
	.section	.rodata,"a",@progbits
	.p2align	6, 0x0
	.amdhsa_kernel _Z19sort_keys_segmentedILj256ELj8ELj4ELb1ExN10test_utils4lessEEvPT3_PKjT4_
		.amdhsa_group_segment_fixed_size 8448
		.amdhsa_private_segment_fixed_size 0
		.amdhsa_kernarg_size 20
		.amdhsa_user_sgpr_count 6
		.amdhsa_user_sgpr_private_segment_buffer 1
		.amdhsa_user_sgpr_dispatch_ptr 0
		.amdhsa_user_sgpr_queue_ptr 0
		.amdhsa_user_sgpr_kernarg_segment_ptr 1
		.amdhsa_user_sgpr_dispatch_id 0
		.amdhsa_user_sgpr_flat_scratch_init 0
		.amdhsa_user_sgpr_private_segment_size 0
		.amdhsa_uses_dynamic_stack 0
		.amdhsa_system_sgpr_private_segment_wavefront_offset 0
		.amdhsa_system_sgpr_workgroup_id_x 1
		.amdhsa_system_sgpr_workgroup_id_y 0
		.amdhsa_system_sgpr_workgroup_id_z 0
		.amdhsa_system_sgpr_workgroup_info 0
		.amdhsa_system_vgpr_workitem_id 0
		.amdhsa_next_free_vgpr 33
		.amdhsa_next_free_sgpr 77
		.amdhsa_reserve_vcc 1
		.amdhsa_reserve_flat_scratch 0
		.amdhsa_float_round_mode_32 0
		.amdhsa_float_round_mode_16_64 0
		.amdhsa_float_denorm_mode_32 3
		.amdhsa_float_denorm_mode_16_64 3
		.amdhsa_dx10_clamp 1
		.amdhsa_ieee_mode 1
		.amdhsa_fp16_overflow 0
		.amdhsa_exception_fp_ieee_invalid_op 0
		.amdhsa_exception_fp_denorm_src 0
		.amdhsa_exception_fp_ieee_div_zero 0
		.amdhsa_exception_fp_ieee_overflow 0
		.amdhsa_exception_fp_ieee_underflow 0
		.amdhsa_exception_fp_ieee_inexact 0
		.amdhsa_exception_int_div_zero 0
	.end_amdhsa_kernel
	.section	.text._Z19sort_keys_segmentedILj256ELj8ELj4ELb1ExN10test_utils4lessEEvPT3_PKjT4_,"axG",@progbits,_Z19sort_keys_segmentedILj256ELj8ELj4ELb1ExN10test_utils4lessEEvPT3_PKjT4_,comdat
.Lfunc_end1:
	.size	_Z19sort_keys_segmentedILj256ELj8ELj4ELb1ExN10test_utils4lessEEvPT3_PKjT4_, .Lfunc_end1-_Z19sort_keys_segmentedILj256ELj8ELj4ELb1ExN10test_utils4lessEEvPT3_PKjT4_
                                        ; -- End function
	.set _Z19sort_keys_segmentedILj256ELj8ELj4ELb1ExN10test_utils4lessEEvPT3_PKjT4_.num_vgpr, 31
	.set _Z19sort_keys_segmentedILj256ELj8ELj4ELb1ExN10test_utils4lessEEvPT3_PKjT4_.num_agpr, 0
	.set _Z19sort_keys_segmentedILj256ELj8ELj4ELb1ExN10test_utils4lessEEvPT3_PKjT4_.numbered_sgpr, 16
	.set _Z19sort_keys_segmentedILj256ELj8ELj4ELb1ExN10test_utils4lessEEvPT3_PKjT4_.num_named_barrier, 0
	.set _Z19sort_keys_segmentedILj256ELj8ELj4ELb1ExN10test_utils4lessEEvPT3_PKjT4_.private_seg_size, 0
	.set _Z19sort_keys_segmentedILj256ELj8ELj4ELb1ExN10test_utils4lessEEvPT3_PKjT4_.uses_vcc, 1
	.set _Z19sort_keys_segmentedILj256ELj8ELj4ELb1ExN10test_utils4lessEEvPT3_PKjT4_.uses_flat_scratch, 0
	.set _Z19sort_keys_segmentedILj256ELj8ELj4ELb1ExN10test_utils4lessEEvPT3_PKjT4_.has_dyn_sized_stack, 0
	.set _Z19sort_keys_segmentedILj256ELj8ELj4ELb1ExN10test_utils4lessEEvPT3_PKjT4_.has_recursion, 0
	.set _Z19sort_keys_segmentedILj256ELj8ELj4ELb1ExN10test_utils4lessEEvPT3_PKjT4_.has_indirect_call, 0
	.section	.AMDGPU.csdata,"",@progbits
; Kernel info:
; codeLenInByte = 3252
; TotalNumSgprs: 20
; NumVgprs: 31
; ScratchSize: 0
; MemoryBound: 1
; FloatMode: 240
; IeeeMode: 1
; LDSByteSize: 8448 bytes/workgroup (compile time only)
; SGPRBlocks: 10
; VGPRBlocks: 8
; NumSGPRsForWavesPerEU: 81
; NumVGPRsForWavesPerEU: 33
; Occupancy: 7
; WaveLimiterHint : 0
; COMPUTE_PGM_RSRC2:SCRATCH_EN: 0
; COMPUTE_PGM_RSRC2:USER_SGPR: 6
; COMPUTE_PGM_RSRC2:TRAP_HANDLER: 0
; COMPUTE_PGM_RSRC2:TGID_X_EN: 1
; COMPUTE_PGM_RSRC2:TGID_Y_EN: 0
; COMPUTE_PGM_RSRC2:TGID_Z_EN: 0
; COMPUTE_PGM_RSRC2:TIDIG_COMP_CNT: 0
	.section	.text._Z19sort_keys_segmentedILj256ELj32ELj8ELb0EN10test_utils16custom_test_typeIfEENS0_4lessEEvPT3_PKjT4_,"axG",@progbits,_Z19sort_keys_segmentedILj256ELj32ELj8ELb0EN10test_utils16custom_test_typeIfEENS0_4lessEEvPT3_PKjT4_,comdat
	.protected	_Z19sort_keys_segmentedILj256ELj32ELj8ELb0EN10test_utils16custom_test_typeIfEENS0_4lessEEvPT3_PKjT4_ ; -- Begin function _Z19sort_keys_segmentedILj256ELj32ELj8ELb0EN10test_utils16custom_test_typeIfEENS0_4lessEEvPT3_PKjT4_
	.globl	_Z19sort_keys_segmentedILj256ELj32ELj8ELb0EN10test_utils16custom_test_typeIfEENS0_4lessEEvPT3_PKjT4_
	.p2align	8
	.type	_Z19sort_keys_segmentedILj256ELj32ELj8ELb0EN10test_utils16custom_test_typeIfEENS0_4lessEEvPT3_PKjT4_,@function
_Z19sort_keys_segmentedILj256ELj32ELj8ELb0EN10test_utils16custom_test_typeIfEENS0_4lessEEvPT3_PKjT4_: ; @_Z19sort_keys_segmentedILj256ELj32ELj8ELb0EN10test_utils16custom_test_typeIfEENS0_4lessEEvPT3_PKjT4_
; %bb.0:
	s_load_dwordx4 s[0:3], s[4:5], 0x0
	v_lshrrev_b32_e32 v20, 5, v0
	v_lshl_or_b32 v6, s6, 3, v20
	v_mov_b32_e32 v7, 0
	v_lshlrev_b64 v[0:1], 2, v[6:7]
	s_waitcnt lgkmcnt(0)
	v_mov_b32_e32 v2, s3
	v_add_co_u32_e32 v0, vcc, s2, v0
	v_addc_co_u32_e32 v1, vcc, v2, v1, vcc
	global_load_dword v34, v[0:1], off
	v_mbcnt_lo_u32_b32 v0, -1, 0
	v_mbcnt_hi_u32_b32 v0, -1, v0
	v_lshlrev_b32_e32 v6, 8, v6
	v_lshlrev_b32_e32 v36, 3, v0
	v_lshlrev_b64 v[0:1], 3, v[6:7]
	v_and_b32_e32 v35, 0xf8, v36
	v_mov_b32_e32 v2, s1
	v_add_co_u32_e32 v0, vcc, s0, v0
	v_lshlrev_b32_e32 v21, 3, v35
	v_addc_co_u32_e32 v1, vcc, v2, v1, vcc
	v_add_co_u32_e32 v0, vcc, v0, v21
	v_addc_co_u32_e32 v1, vcc, 0, v1, vcc
	v_mov_b32_e32 v3, 0
	v_mov_b32_e32 v2, 0
	s_waitcnt vmcnt(0)
	v_cmp_lt_u32_e32 vcc, v35, v34
	s_and_saveexec_b64 s[0:1], vcc
	s_cbranch_execz .LBB2_2
; %bb.1:
	global_load_dwordx2 v[2:3], v[0:1], off
.LBB2_2:
	s_or_b64 exec, exec, s[0:1]
	v_or_b32_e32 v12, 1, v35
	v_cmp_lt_u32_e64 s[0:1], v12, v34
	v_mov_b32_e32 v6, 0
	s_and_saveexec_b64 s[2:3], s[0:1]
	s_cbranch_execz .LBB2_4
; %bb.3:
	global_load_dwordx2 v[6:7], v[0:1], off offset:8
.LBB2_4:
	s_or_b64 exec, exec, s[2:3]
	v_or_b32_e32 v29, 2, v35
	v_cmp_lt_u32_e64 s[2:3], v29, v34
	v_mov_b32_e32 v11, 0
	v_mov_b32_e32 v9, 0
	v_mov_b32_e32 v8, 0
	s_and_saveexec_b64 s[4:5], s[2:3]
	s_cbranch_execz .LBB2_6
; %bb.5:
	global_load_dwordx2 v[8:9], v[0:1], off offset:16
.LBB2_6:
	s_or_b64 exec, exec, s[4:5]
	v_or_b32_e32 v28, 3, v35
	v_cmp_lt_u32_e64 s[4:5], v28, v34
	v_mov_b32_e32 v10, 0
	s_and_saveexec_b64 s[6:7], s[4:5]
	s_cbranch_execz .LBB2_8
; %bb.7:
	global_load_dwordx2 v[10:11], v[0:1], off offset:24
.LBB2_8:
	s_or_b64 exec, exec, s[6:7]
	v_or_b32_e32 v27, 4, v35
	v_cmp_lt_u32_e64 s[6:7], v27, v34
	v_mov_b32_e32 v5, 0
	v_mov_b32_e32 v19, 0
	v_mov_b32_e32 v18, 0
	s_and_saveexec_b64 s[8:9], s[6:7]
	s_cbranch_execz .LBB2_10
; %bb.9:
	global_load_dwordx2 v[18:19], v[0:1], off offset:32
.LBB2_10:
	;; [unrolled: 20-line block ×3, first 2 shown]
	s_or_b64 exec, exec, s[12:13]
	v_or_b32_e32 v22, 7, v35
	v_cmp_lt_u32_e64 s[12:13], v22, v34
	v_mov_b32_e32 v14, 0
	s_and_saveexec_b64 s[14:15], s[12:13]
	s_cbranch_execz .LBB2_16
; %bb.15:
	global_load_dwordx2 v[14:15], v[0:1], off offset:56
.LBB2_16:
	s_or_b64 exec, exec, s[14:15]
	s_getpc_b64 s[14:15]
	s_add_u32 s14, s14, _ZN9sort_lastIN10test_utils4lessENS0_16custom_test_typeIfEEE5valueE@rel32@lo+4
	s_addc_u32 s15, s15, _ZN9sort_lastIN10test_utils4lessENS0_16custom_test_typeIfEEE5valueE@rel32@hi+12
	s_load_dwordx2 s[16:17], s[14:15], 0x0
	v_cmp_lt_i32_e64 s[14:15], v12, v34
	s_waitcnt lgkmcnt(0)
	v_mov_b32_e32 v24, s16
	v_mov_b32_e32 v25, s17
	;; [unrolled: 1-line block ×4, first 2 shown]
	s_and_saveexec_b64 s[18:19], s[14:15]
	s_cbranch_execz .LBB2_22
; %bb.17:
	s_waitcnt vmcnt(0)
	v_cmp_nlt_f32_e64 s[14:15], s16, v6
	s_mov_b64 s[22:23], -1
	s_and_saveexec_b64 s[20:21], s[14:15]
	s_cbranch_execz .LBB2_21
; %bb.18:
	v_cmp_eq_f32_e64 s[14:15], s16, v6
	s_mov_b64 s[22:23], 0
	s_and_saveexec_b64 s[24:25], s[14:15]
; %bb.19:
	v_cmp_lt_f32_e64 s[14:15], s17, v7
	s_and_b64 s[22:23], s[14:15], exec
; %bb.20:
	s_or_b64 exec, exec, s[24:25]
	s_orn2_b64 s[22:23], s[22:23], exec
.LBB2_21:
	s_or_b64 exec, exec, s[20:21]
	v_mov_b32_e32 v12, s16
	v_cndmask_b32_e64 v24, v12, v6, s[22:23]
	v_mov_b32_e32 v12, s17
	v_cndmask_b32_e64 v25, v12, v7, s[22:23]
	v_mov_b32_e32 v12, v6
	v_mov_b32_e32 v13, v7
.LBB2_22:
	s_or_b64 exec, exec, s[18:19]
	v_cmp_lt_i32_e64 s[14:15], v29, v34
	s_waitcnt vmcnt(0)
	v_mov_b32_e32 v6, v24
	v_mov_b32_e32 v7, v25
	s_and_saveexec_b64 s[16:17], s[14:15]
	s_cbranch_execz .LBB2_28
; %bb.23:
	v_cmp_nlt_f32_e64 s[14:15], v24, v8
	s_mov_b64 s[20:21], -1
	s_and_saveexec_b64 s[18:19], s[14:15]
	s_cbranch_execz .LBB2_27
; %bb.24:
	v_cmp_eq_f32_e64 s[14:15], v24, v8
	s_mov_b64 s[20:21], 0
	s_and_saveexec_b64 s[22:23], s[14:15]
; %bb.25:
	v_cmp_lt_f32_e64 s[14:15], v25, v9
	s_and_b64 s[20:21], s[14:15], exec
; %bb.26:
	s_or_b64 exec, exec, s[22:23]
	s_orn2_b64 s[20:21], s[20:21], exec
.LBB2_27:
	s_or_b64 exec, exec, s[18:19]
	v_cndmask_b32_e64 v24, v24, v8, s[20:21]
	v_cndmask_b32_e64 v25, v25, v9, s[20:21]
	v_mov_b32_e32 v6, v8
	v_mov_b32_e32 v7, v9
.LBB2_28:
	s_or_b64 exec, exec, s[16:17]
	v_cmp_lt_i32_e64 s[14:15], v28, v34
	v_mov_b32_e32 v8, v24
	v_mov_b32_e32 v9, v25
	s_and_saveexec_b64 s[16:17], s[14:15]
	s_cbranch_execz .LBB2_34
; %bb.29:
	v_cmp_nlt_f32_e64 s[14:15], v24, v10
	s_mov_b64 s[20:21], -1
	s_and_saveexec_b64 s[18:19], s[14:15]
	s_cbranch_execz .LBB2_33
; %bb.30:
	v_cmp_eq_f32_e64 s[14:15], v24, v10
	s_mov_b64 s[20:21], 0
	s_and_saveexec_b64 s[22:23], s[14:15]
; %bb.31:
	v_cmp_lt_f32_e64 s[14:15], v25, v11
	s_and_b64 s[20:21], s[14:15], exec
; %bb.32:
	s_or_b64 exec, exec, s[22:23]
	s_orn2_b64 s[20:21], s[20:21], exec
.LBB2_33:
	s_or_b64 exec, exec, s[18:19]
	v_cndmask_b32_e64 v24, v24, v10, s[20:21]
	v_cndmask_b32_e64 v25, v25, v11, s[20:21]
	v_mov_b32_e32 v8, v10
	v_mov_b32_e32 v9, v11
.LBB2_34:
	s_or_b64 exec, exec, s[16:17]
	v_cmp_lt_i32_e64 s[14:15], v27, v34
	;; [unrolled: 28-line block ×5, first 2 shown]
	v_cndmask_b32_e64 v15, v25, v15, s[14:15]
	v_cndmask_b32_e64 v14, v24, v14, s[14:15]
	v_cmp_lt_i32_e64 s[14:15], v35, v34
	s_and_saveexec_b64 s[18:19], s[14:15]
	s_cbranch_execz .LBB2_166
; %bb.53:
	v_cmp_lt_f32_e64 s[20:21], v12, v2
	v_cmp_nlt_f32_e64 s[14:15], v12, v2
	s_and_saveexec_b64 s[22:23], s[14:15]
; %bb.54:
	v_cmp_eq_f32_e64 s[14:15], v12, v2
	v_cmp_lt_f32_e64 s[16:17], v13, v3
	s_and_b64 s[14:15], s[14:15], s[16:17]
	s_andn2_b64 s[16:17], s[20:21], exec
	s_and_b64 s[14:15], s[14:15], exec
	s_or_b64 s[20:21], s[16:17], s[14:15]
; %bb.55:
	s_or_b64 exec, exec, s[22:23]
	v_mov_b32_e32 v16, v13
	v_mov_b32_e32 v17, v12
	s_and_saveexec_b64 s[14:15], s[20:21]
; %bb.56:
	v_mov_b32_e32 v16, v3
	v_mov_b32_e32 v17, v2
	v_mov_b32_e32 v3, v13
	v_mov_b32_e32 v2, v12
; %bb.57:
	s_or_b64 exec, exec, s[14:15]
	v_cmp_lt_f32_e64 s[20:21], v8, v6
	v_cmp_nlt_f32_e64 s[14:15], v8, v6
	s_and_saveexec_b64 s[22:23], s[14:15]
; %bb.58:
	v_cmp_eq_f32_e64 s[14:15], v8, v6
	v_cmp_lt_f32_e64 s[16:17], v9, v7
	s_and_b64 s[14:15], s[14:15], s[16:17]
	s_andn2_b64 s[16:17], s[20:21], exec
	s_and_b64 s[14:15], s[14:15], exec
	s_or_b64 s[20:21], s[16:17], s[14:15]
; %bb.59:
	s_or_b64 exec, exec, s[22:23]
	v_mov_b32_e32 v13, v9
	v_mov_b32_e32 v23, v8
	s_and_saveexec_b64 s[14:15], s[20:21]
; %bb.60:
	v_mov_b32_e32 v13, v7
	v_mov_b32_e32 v23, v6
	v_mov_b32_e32 v7, v9
	v_mov_b32_e32 v6, v8
; %bb.61:
	s_or_b64 exec, exec, s[14:15]
	;; [unrolled: 22-line block ×4, first 2 shown]
	v_cmp_nlt_f32_e64 s[14:15], v6, v17
	s_mov_b64 s[16:17], -1
	s_and_saveexec_b64 s[20:21], s[14:15]
	s_xor_b64 s[20:21], exec, s[20:21]
; %bb.70:
	v_cmp_eq_f32_e64 s[14:15], v6, v17
	v_cmp_lt_f32_e64 s[16:17], v7, v16
	s_and_b64 s[14:15], s[14:15], s[16:17]
	s_orn2_b64 s[16:17], s[14:15], exec
; %bb.71:
	s_or_b64 exec, exec, s[20:21]
	v_mov_b32_e32 v9, v7
	v_mov_b32_e32 v14, v6
	s_and_saveexec_b64 s[14:15], s[16:17]
; %bb.72:
	v_mov_b32_e32 v9, v16
	v_mov_b32_e32 v14, v17
	v_mov_b32_e32 v16, v7
	v_mov_b32_e32 v17, v6
; %bb.73:
	s_or_b64 exec, exec, s[14:15]
	v_cmp_lt_f32_e64 s[20:21], v10, v23
	v_cmp_nlt_f32_e64 s[14:15], v10, v23
	s_and_saveexec_b64 s[22:23], s[14:15]
; %bb.74:
	v_cmp_eq_f32_e64 s[14:15], v10, v23
	v_cmp_lt_f32_e64 s[16:17], v11, v13
	s_and_b64 s[14:15], s[14:15], s[16:17]
	s_andn2_b64 s[16:17], s[20:21], exec
	s_and_b64 s[14:15], s[14:15], exec
	s_or_b64 s[20:21], s[16:17], s[14:15]
; %bb.75:
	s_or_b64 exec, exec, s[22:23]
	v_mov_b32_e32 v6, v11
	v_mov_b32_e32 v15, v10
	s_and_saveexec_b64 s[14:15], s[20:21]
; %bb.76:
	v_mov_b32_e32 v6, v13
	v_mov_b32_e32 v15, v23
	v_mov_b32_e32 v13, v11
	v_mov_b32_e32 v23, v10
; %bb.77:
	s_or_b64 exec, exec, s[14:15]
	v_cmp_lt_f32_e64 s[20:21], v4, v24
	v_cmp_nlt_f32_e64 s[14:15], v4, v24
	s_and_saveexec_b64 s[22:23], s[14:15]
; %bb.78:
	v_cmp_eq_f32_e64 s[14:15], v4, v24
	v_cmp_lt_f32_e64 s[16:17], v5, v22
	s_and_b64 s[14:15], s[14:15], s[16:17]
	s_andn2_b64 s[16:17], s[20:21], exec
	s_and_b64 s[14:15], s[14:15], exec
	s_or_b64 s[20:21], s[16:17], s[14:15]
	;; [unrolled: 22-line block ×23, first 2 shown]
; %bb.163:
	s_or_b64 exec, exec, s[22:23]
	v_mov_b32_e32 v18, v24
	v_mov_b32_e32 v19, v13
	s_and_saveexec_b64 s[14:15], s[20:21]
; %bb.164:
	v_mov_b32_e32 v18, v4
	v_mov_b32_e32 v19, v5
	v_mov_b32_e32 v4, v24
	v_mov_b32_e32 v5, v13
; %bb.165:
	s_or_b64 exec, exec, s[14:15]
	v_mov_b32_e32 v12, v17
	v_mov_b32_e32 v13, v16
.LBB2_166:
	s_or_b64 exec, exec, s[18:19]
	s_movk_i32 s14, 0x808
	v_mad_u32_u24 v38, v20, s14, v21
	; wave barrier
	ds_write2_b64 v38, v[2:3], v[12:13] offset1:1
	ds_write2_b64 v38, v[6:7], v[8:9] offset0:2 offset1:3
	ds_write2_b64 v38, v[10:11], v[18:19] offset0:4 offset1:5
	;; [unrolled: 1-line block ×3, first 2 shown]
	v_and_b32_e32 v3, 0xf0, v36
	v_min_i32_e32 v6, v34, v3
	v_add_u32_e32 v3, 8, v6
	v_min_i32_e32 v39, v34, v3
	v_add_u32_e32 v3, 8, v39
	v_and_b32_e32 v2, 8, v36
	v_min_i32_e32 v40, v34, v3
	v_min_i32_e32 v2, v34, v2
	v_sub_u32_e32 v5, v40, v39
	v_lshlrev_b32_e32 v4, 3, v6
	v_sub_u32_e32 v3, v39, v6
	v_mad_u32_u24 v4, v20, s14, v4
	v_sub_u32_e32 v7, v2, v5
	v_cmp_ge_i32_e64 s[14:15], v2, v5
	v_cndmask_b32_e64 v7, 0, v7, s[14:15]
	v_min_i32_e32 v3, v2, v3
	v_mul_u32_u24_e32 v37, 0x808, v20
	v_cmp_lt_i32_e64 s[14:15], v7, v3
	; wave barrier
	s_and_saveexec_b64 s[16:17], s[14:15]
	s_cbranch_execz .LBB2_174
; %bb.167:
	v_lshlrev_b32_e32 v5, 3, v39
	v_lshlrev_b32_e32 v8, 3, v2
	v_add3_u32 v5, v37, v5, v8
	s_mov_b64 s[18:19], 0
                                        ; implicit-def: $sgpr20_sgpr21
	s_branch .LBB2_170
.LBB2_168:                              ;   in Loop: Header=BB2_170 Depth=1
	s_or_b64 exec, exec, s[26:27]
	s_andn2_b64 s[14:15], s[20:21], exec
	s_and_b64 s[20:21], s[24:25], exec
	s_or_b64 s[20:21], s[14:15], s[20:21]
.LBB2_169:                              ;   in Loop: Header=BB2_170 Depth=1
	s_or_b64 exec, exec, s[22:23]
	v_add_u32_e32 v9, 1, v8
	v_cndmask_b32_e64 v3, v3, v8, s[20:21]
	v_cndmask_b32_e64 v7, v9, v7, s[20:21]
	v_cmp_ge_i32_e64 s[14:15], v7, v3
	s_or_b64 s[18:19], s[14:15], s[18:19]
	s_andn2_b64 exec, exec, s[18:19]
	s_cbranch_execz .LBB2_173
.LBB2_170:                              ; =>This Inner Loop Header: Depth=1
	v_sub_u32_e32 v8, v3, v7
	v_lshrrev_b32_e32 v8, 1, v8
	v_add_u32_e32 v8, v8, v7
	v_lshl_add_u32 v9, v8, 3, v4
	v_not_b32_e32 v10, v8
	v_lshl_add_u32 v10, v10, 3, v5
	ds_read_b32 v11, v9
	ds_read_b32 v12, v10
	s_or_b64 s[20:21], s[20:21], exec
	s_waitcnt lgkmcnt(0)
	v_cmp_nlt_f32_e64 s[14:15], v12, v11
	s_and_saveexec_b64 s[22:23], s[14:15]
	s_cbranch_execz .LBB2_169
; %bb.171:                              ;   in Loop: Header=BB2_170 Depth=1
	v_cmp_eq_f32_e64 s[14:15], v12, v11
	s_mov_b64 s[24:25], 0
	s_and_saveexec_b64 s[26:27], s[14:15]
	s_cbranch_execz .LBB2_168
; %bb.172:                              ;   in Loop: Header=BB2_170 Depth=1
	ds_read_b32 v10, v10 offset:4
	ds_read_b32 v9, v9 offset:4
	s_waitcnt lgkmcnt(0)
	v_cmp_lt_f32_e64 s[14:15], v10, v9
	s_and_b64 s[24:25], s[14:15], exec
	s_branch .LBB2_168
.LBB2_173:
	s_or_b64 exec, exec, s[18:19]
.LBB2_174:
	s_or_b64 exec, exec, s[16:17]
	v_add_u32_e32 v2, v39, v2
	v_sub_u32_e32 v10, v2, v7
	v_lshl_add_u32 v12, v10, 3, v37
	ds_read_b64 v[2:3], v12
	v_lshl_add_u32 v9, v7, 3, v4
	ds_read_b64 v[4:5], v9
	v_add_u32_e32 v11, v7, v6
	v_cmp_gt_i32_e64 s[14:15], v40, v10
	s_waitcnt lgkmcnt(1)
	v_mov_b32_e32 v6, v2
	v_mov_b32_e32 v7, v3
	s_mov_b64 s[18:19], 0
	s_and_saveexec_b64 s[20:21], s[14:15]
	s_cbranch_execz .LBB2_180
; %bb.175:
	v_cmp_gt_i32_e64 s[14:15], v39, v11
	s_waitcnt lgkmcnt(0)
	v_cmp_nlt_f32_e64 s[16:17], v2, v4
	s_and_b64 s[18:19], s[14:15], s[16:17]
	s_mov_b64 s[14:15], -1
	s_and_saveexec_b64 s[16:17], s[18:19]
	s_cbranch_execz .LBB2_179
; %bb.176:
	v_cmp_eq_f32_e64 s[14:15], v2, v4
	s_mov_b64 s[18:19], 0
	s_and_saveexec_b64 s[22:23], s[14:15]
; %bb.177:
	v_cmp_lt_f32_e64 s[14:15], v3, v5
	s_and_b64 s[18:19], s[14:15], exec
; %bb.178:
	s_or_b64 exec, exec, s[22:23]
	s_orn2_b64 s[14:15], s[18:19], exec
.LBB2_179:
	s_or_b64 exec, exec, s[16:17]
	s_and_b64 s[18:19], s[14:15], exec
.LBB2_180:
	s_or_b64 exec, exec, s[20:21]
	s_xor_b64 s[14:15], s[18:19], -1
                                        ; implicit-def: $vgpr8
	s_and_saveexec_b64 s[16:17], s[14:15]
	s_xor_b64 s[14:15], exec, s[16:17]
; %bb.181:
	ds_read_b64 v[8:9], v9 offset:8
                                        ; implicit-def: $vgpr12
; %bb.182:
	s_andn2_saveexec_b64 s[14:15], s[14:15]
	s_cbranch_execz .LBB2_184
; %bb.183:
	ds_read_b64 v[6:7], v12 offset:8
	s_waitcnt lgkmcnt(1)
	v_mov_b32_e32 v9, v5
	v_mov_b32_e32 v8, v4
.LBB2_184:
	s_or_b64 exec, exec, s[14:15]
	v_add_u32_e32 v12, 1, v10
	v_add_u32_e32 v13, 1, v11
	v_cndmask_b32_e64 v14, v10, v12, s[18:19]
	v_cndmask_b32_e64 v15, v13, v11, s[18:19]
	v_cmp_lt_i32_e64 s[14:15], v14, v40
	s_mov_b64 s[20:21], 0
	s_and_saveexec_b64 s[22:23], s[14:15]
	s_cbranch_execz .LBB2_190
; %bb.185:
	v_cmp_lt_i32_e64 s[14:15], v15, v39
	s_waitcnt lgkmcnt(0)
	v_cmp_nlt_f32_e64 s[16:17], v6, v8
	s_and_b64 s[20:21], s[14:15], s[16:17]
	s_mov_b64 s[14:15], -1
	s_and_saveexec_b64 s[16:17], s[20:21]
	s_cbranch_execz .LBB2_189
; %bb.186:
	v_cmp_eq_f32_e64 s[14:15], v6, v8
	s_mov_b64 s[20:21], 0
	s_and_saveexec_b64 s[24:25], s[14:15]
; %bb.187:
	v_cmp_lt_f32_e64 s[14:15], v7, v9
	s_and_b64 s[20:21], s[14:15], exec
; %bb.188:
	s_or_b64 exec, exec, s[24:25]
	s_orn2_b64 s[14:15], s[20:21], exec
.LBB2_189:
	s_or_b64 exec, exec, s[16:17]
	s_and_b64 s[20:21], s[14:15], exec
.LBB2_190:
	s_or_b64 exec, exec, s[22:23]
	s_xor_b64 s[14:15], s[20:21], -1
                                        ; implicit-def: $vgpr10
	s_and_saveexec_b64 s[16:17], s[14:15]
	s_xor_b64 s[14:15], exec, s[16:17]
; %bb.191:
	v_lshl_add_u32 v10, v15, 3, v37
	ds_read_b64 v[10:11], v10 offset:8
; %bb.192:
	s_or_saveexec_b64 s[14:15], s[14:15]
	s_waitcnt lgkmcnt(0)
	v_mov_b32_e32 v12, v6
	v_mov_b32_e32 v13, v7
	s_xor_b64 exec, exec, s[14:15]
; %bb.193:
	v_lshl_add_u32 v10, v14, 3, v37
	ds_read_b64 v[12:13], v10 offset:8
	v_mov_b32_e32 v11, v9
	v_mov_b32_e32 v10, v8
; %bb.194:
	s_or_b64 exec, exec, s[14:15]
	v_add_u32_e32 v16, 1, v14
	v_add_u32_e32 v17, 1, v15
	v_cndmask_b32_e64 v18, v14, v16, s[20:21]
	v_cndmask_b32_e64 v19, v17, v15, s[20:21]
	v_cmp_lt_i32_e64 s[14:15], v18, v40
	s_mov_b64 s[22:23], 0
	s_and_saveexec_b64 s[24:25], s[14:15]
	s_cbranch_execz .LBB2_200
; %bb.195:
	v_cmp_lt_i32_e64 s[14:15], v19, v39
	s_waitcnt lgkmcnt(0)
	v_cmp_nlt_f32_e64 s[16:17], v12, v10
	s_and_b64 s[22:23], s[14:15], s[16:17]
	s_mov_b64 s[14:15], -1
	s_and_saveexec_b64 s[16:17], s[22:23]
	s_cbranch_execz .LBB2_199
; %bb.196:
	v_cmp_eq_f32_e64 s[14:15], v12, v10
	s_mov_b64 s[22:23], 0
	s_and_saveexec_b64 s[26:27], s[14:15]
; %bb.197:
	v_cmp_lt_f32_e64 s[14:15], v13, v11
	s_and_b64 s[22:23], s[14:15], exec
; %bb.198:
	s_or_b64 exec, exec, s[26:27]
	s_orn2_b64 s[14:15], s[22:23], exec
.LBB2_199:
	s_or_b64 exec, exec, s[16:17]
	s_and_b64 s[22:23], s[14:15], exec
.LBB2_200:
	s_or_b64 exec, exec, s[24:25]
	s_xor_b64 s[14:15], s[22:23], -1
                                        ; implicit-def: $vgpr14
	s_and_saveexec_b64 s[16:17], s[14:15]
	s_xor_b64 s[14:15], exec, s[16:17]
; %bb.201:
	v_lshl_add_u32 v14, v19, 3, v37
	ds_read_b64 v[14:15], v14 offset:8
; %bb.202:
	s_or_saveexec_b64 s[14:15], s[14:15]
	s_waitcnt lgkmcnt(0)
	v_mov_b32_e32 v16, v12
	v_mov_b32_e32 v17, v13
	s_xor_b64 exec, exec, s[14:15]
; %bb.203:
	v_lshl_add_u32 v14, v18, 3, v37
	ds_read_b64 v[16:17], v14 offset:8
	v_mov_b32_e32 v15, v11
	v_mov_b32_e32 v14, v10
; %bb.204:
	s_or_b64 exec, exec, s[14:15]
	v_add_u32_e32 v20, 1, v18
	v_add_u32_e32 v21, 1, v19
	v_cndmask_b32_e64 v22, v18, v20, s[22:23]
	v_cndmask_b32_e64 v23, v21, v19, s[22:23]
	v_cmp_lt_i32_e64 s[14:15], v22, v40
	s_mov_b64 s[24:25], 0
	s_and_saveexec_b64 s[26:27], s[14:15]
	s_cbranch_execz .LBB2_210
; %bb.205:
	v_cmp_lt_i32_e64 s[14:15], v23, v39
	s_waitcnt lgkmcnt(0)
	v_cmp_nlt_f32_e64 s[16:17], v16, v14
	s_and_b64 s[24:25], s[14:15], s[16:17]
	s_mov_b64 s[14:15], -1
	s_and_saveexec_b64 s[16:17], s[24:25]
	s_cbranch_execz .LBB2_209
; %bb.206:
	v_cmp_eq_f32_e64 s[14:15], v16, v14
	s_mov_b64 s[24:25], 0
	s_and_saveexec_b64 s[28:29], s[14:15]
; %bb.207:
	v_cmp_lt_f32_e64 s[14:15], v17, v15
	s_and_b64 s[24:25], s[14:15], exec
; %bb.208:
	s_or_b64 exec, exec, s[28:29]
	s_orn2_b64 s[14:15], s[24:25], exec
.LBB2_209:
	s_or_b64 exec, exec, s[16:17]
	s_and_b64 s[24:25], s[14:15], exec
.LBB2_210:
	s_or_b64 exec, exec, s[26:27]
	s_xor_b64 s[14:15], s[24:25], -1
                                        ; implicit-def: $vgpr18
	s_and_saveexec_b64 s[16:17], s[14:15]
	s_xor_b64 s[14:15], exec, s[16:17]
; %bb.211:
	v_lshl_add_u32 v18, v23, 3, v37
	ds_read_b64 v[18:19], v18 offset:8
; %bb.212:
	s_or_saveexec_b64 s[14:15], s[14:15]
	s_waitcnt lgkmcnt(0)
	v_mov_b32_e32 v20, v16
	v_mov_b32_e32 v21, v17
	s_xor_b64 exec, exec, s[14:15]
; %bb.213:
	v_lshl_add_u32 v18, v22, 3, v37
	ds_read_b64 v[20:21], v18 offset:8
	v_mov_b32_e32 v19, v15
	v_mov_b32_e32 v18, v14
; %bb.214:
	s_or_b64 exec, exec, s[14:15]
	v_add_u32_e32 v24, 1, v22
	v_add_u32_e32 v25, 1, v23
	v_cndmask_b32_e64 v26, v22, v24, s[24:25]
	v_cndmask_b32_e64 v27, v25, v23, s[24:25]
	v_cmp_lt_i32_e64 s[14:15], v26, v40
	s_mov_b64 s[26:27], 0
	s_and_saveexec_b64 s[28:29], s[14:15]
	s_cbranch_execz .LBB2_220
; %bb.215:
	v_cmp_lt_i32_e64 s[14:15], v27, v39
	s_waitcnt lgkmcnt(0)
	v_cmp_nlt_f32_e64 s[16:17], v20, v18
	s_and_b64 s[26:27], s[14:15], s[16:17]
	s_mov_b64 s[14:15], -1
	s_and_saveexec_b64 s[16:17], s[26:27]
	s_cbranch_execz .LBB2_219
; %bb.216:
	v_cmp_eq_f32_e64 s[14:15], v20, v18
	s_mov_b64 s[26:27], 0
	s_and_saveexec_b64 s[30:31], s[14:15]
; %bb.217:
	v_cmp_lt_f32_e64 s[14:15], v21, v19
	s_and_b64 s[26:27], s[14:15], exec
; %bb.218:
	s_or_b64 exec, exec, s[30:31]
	s_orn2_b64 s[14:15], s[26:27], exec
.LBB2_219:
	s_or_b64 exec, exec, s[16:17]
	s_and_b64 s[26:27], s[14:15], exec
.LBB2_220:
	s_or_b64 exec, exec, s[28:29]
	s_xor_b64 s[14:15], s[26:27], -1
                                        ; implicit-def: $vgpr22
	s_and_saveexec_b64 s[16:17], s[14:15]
	s_xor_b64 s[14:15], exec, s[16:17]
; %bb.221:
	v_lshl_add_u32 v22, v27, 3, v37
	ds_read_b64 v[22:23], v22 offset:8
; %bb.222:
	s_or_saveexec_b64 s[14:15], s[14:15]
	s_waitcnt lgkmcnt(0)
	v_mov_b32_e32 v24, v20
	v_mov_b32_e32 v25, v21
	s_xor_b64 exec, exec, s[14:15]
; %bb.223:
	v_lshl_add_u32 v22, v26, 3, v37
	ds_read_b64 v[24:25], v22 offset:8
	v_mov_b32_e32 v23, v19
	v_mov_b32_e32 v22, v18
; %bb.224:
	s_or_b64 exec, exec, s[14:15]
	v_add_u32_e32 v28, 1, v26
	v_add_u32_e32 v29, 1, v27
	v_cndmask_b32_e64 v30, v26, v28, s[26:27]
	v_cndmask_b32_e64 v31, v29, v27, s[26:27]
	v_cmp_lt_i32_e64 s[14:15], v30, v40
	s_mov_b64 s[28:29], 0
	s_and_saveexec_b64 s[30:31], s[14:15]
	s_cbranch_execz .LBB2_230
; %bb.225:
	v_cmp_lt_i32_e64 s[14:15], v31, v39
	s_waitcnt lgkmcnt(0)
	v_cmp_nlt_f32_e64 s[16:17], v24, v22
	s_and_b64 s[28:29], s[14:15], s[16:17]
	s_mov_b64 s[14:15], -1
	s_and_saveexec_b64 s[16:17], s[28:29]
	s_cbranch_execz .LBB2_229
; %bb.226:
	v_cmp_eq_f32_e64 s[14:15], v24, v22
	s_mov_b64 s[28:29], 0
	s_and_saveexec_b64 s[34:35], s[14:15]
; %bb.227:
	v_cmp_lt_f32_e64 s[14:15], v25, v23
	s_and_b64 s[28:29], s[14:15], exec
; %bb.228:
	s_or_b64 exec, exec, s[34:35]
	s_orn2_b64 s[14:15], s[28:29], exec
.LBB2_229:
	s_or_b64 exec, exec, s[16:17]
	s_and_b64 s[28:29], s[14:15], exec
.LBB2_230:
	s_or_b64 exec, exec, s[30:31]
	s_xor_b64 s[14:15], s[28:29], -1
                                        ; implicit-def: $vgpr26
	s_and_saveexec_b64 s[16:17], s[14:15]
	s_xor_b64 s[14:15], exec, s[16:17]
; %bb.231:
	v_lshl_add_u32 v26, v31, 3, v37
	ds_read_b64 v[26:27], v26 offset:8
; %bb.232:
	s_or_saveexec_b64 s[14:15], s[14:15]
	s_waitcnt lgkmcnt(0)
	v_mov_b32_e32 v28, v24
	v_mov_b32_e32 v29, v25
	s_xor_b64 exec, exec, s[14:15]
; %bb.233:
	v_lshl_add_u32 v26, v30, 3, v37
	ds_read_b64 v[28:29], v26 offset:8
	v_mov_b32_e32 v27, v23
	v_mov_b32_e32 v26, v22
; %bb.234:
	s_or_b64 exec, exec, s[14:15]
	v_add_u32_e32 v32, 1, v30
	v_add_u32_e32 v33, 1, v31
	v_cndmask_b32_e64 v42, v30, v32, s[28:29]
	v_cndmask_b32_e64 v41, v33, v31, s[28:29]
	v_cmp_lt_i32_e64 s[14:15], v42, v40
	s_mov_b64 s[30:31], 0
	s_and_saveexec_b64 s[34:35], s[14:15]
	s_cbranch_execz .LBB2_240
; %bb.235:
	v_cmp_lt_i32_e64 s[14:15], v41, v39
	s_waitcnt lgkmcnt(0)
	v_cmp_nlt_f32_e64 s[16:17], v28, v26
	s_and_b64 s[30:31], s[14:15], s[16:17]
	s_mov_b64 s[14:15], -1
	s_and_saveexec_b64 s[16:17], s[30:31]
	s_cbranch_execz .LBB2_239
; %bb.236:
	v_cmp_eq_f32_e64 s[14:15], v28, v26
	s_mov_b64 s[30:31], 0
	s_and_saveexec_b64 s[36:37], s[14:15]
; %bb.237:
	v_cmp_lt_f32_e64 s[14:15], v29, v27
	s_and_b64 s[30:31], s[14:15], exec
; %bb.238:
	s_or_b64 exec, exec, s[36:37]
	s_orn2_b64 s[14:15], s[30:31], exec
.LBB2_239:
	s_or_b64 exec, exec, s[16:17]
	s_and_b64 s[30:31], s[14:15], exec
.LBB2_240:
	s_or_b64 exec, exec, s[34:35]
	s_xor_b64 s[14:15], s[30:31], -1
                                        ; implicit-def: $vgpr30
	s_and_saveexec_b64 s[16:17], s[14:15]
	s_xor_b64 s[14:15], exec, s[16:17]
; %bb.241:
	v_lshl_add_u32 v30, v41, 3, v37
	ds_read_b64 v[30:31], v30 offset:8
; %bb.242:
	s_or_saveexec_b64 s[14:15], s[14:15]
	s_waitcnt lgkmcnt(0)
	v_mov_b32_e32 v32, v28
	v_mov_b32_e32 v33, v29
	s_xor_b64 exec, exec, s[14:15]
; %bb.243:
	v_lshl_add_u32 v30, v42, 3, v37
	ds_read_b64 v[32:33], v30 offset:8
	v_mov_b32_e32 v31, v27
	v_mov_b32_e32 v30, v26
; %bb.244:
	s_or_b64 exec, exec, s[14:15]
	v_add_u32_e32 v43, 1, v42
	v_cndmask_b32_e64 v42, v42, v43, s[30:31]
	v_cmp_lt_i32_e64 s[14:15], v42, v40
	s_mov_b64 s[16:17], 0
	s_and_saveexec_b64 s[34:35], s[14:15]
	s_cbranch_execz .LBB2_250
; %bb.245:
	v_add_u32_e32 v40, 1, v41
	v_cndmask_b32_e64 v40, v40, v41, s[30:31]
	v_cmp_lt_i32_e64 s[14:15], v40, v39
	s_waitcnt lgkmcnt(0)
	v_cmp_nlt_f32_e64 s[16:17], v32, v30
	s_and_b64 s[36:37], s[14:15], s[16:17]
	s_mov_b64 s[14:15], -1
	s_and_saveexec_b64 s[16:17], s[36:37]
	s_cbranch_execz .LBB2_249
; %bb.246:
	v_cmp_eq_f32_e64 s[14:15], v32, v30
	s_mov_b64 s[36:37], 0
	s_and_saveexec_b64 s[38:39], s[14:15]
; %bb.247:
	v_cmp_lt_f32_e64 s[14:15], v33, v31
	s_and_b64 s[36:37], s[14:15], exec
; %bb.248:
	s_or_b64 exec, exec, s[38:39]
	s_orn2_b64 s[14:15], s[36:37], exec
.LBB2_249:
	s_or_b64 exec, exec, s[16:17]
	s_and_b64 s[16:17], s[14:15], exec
.LBB2_250:
	s_or_b64 exec, exec, s[34:35]
	v_cndmask_b32_e64 v6, v8, v6, s[20:21]
	v_cndmask_b32_e64 v7, v9, v7, s[20:21]
	;; [unrolled: 1-line block ×14, first 2 shown]
	s_waitcnt lgkmcnt(0)
	v_cndmask_b32_e64 v4, v30, v32, s[16:17]
	v_cndmask_b32_e64 v5, v31, v33, s[16:17]
	; wave barrier
	ds_write2_b64 v38, v[2:3], v[6:7] offset1:1
	ds_write2_b64 v38, v[10:11], v[14:15] offset0:2 offset1:3
	ds_write2_b64 v38, v[18:19], v[22:23] offset0:4 offset1:5
	;; [unrolled: 1-line block ×3, first 2 shown]
	v_and_b32_e32 v3, 0xe0, v36
	v_min_i32_e32 v6, v34, v3
	v_add_u32_e32 v3, 16, v6
	v_min_i32_e32 v39, v34, v3
	v_add_u32_e32 v3, 16, v39
	v_and_b32_e32 v2, 24, v36
	v_min_i32_e32 v40, v34, v3
	v_min_i32_e32 v2, v34, v2
	v_sub_u32_e32 v5, v40, v39
	v_sub_u32_e32 v3, v39, v6
	v_sub_u32_e32 v7, v2, v5
	v_cmp_ge_i32_e64 s[14:15], v2, v5
	v_cndmask_b32_e64 v7, 0, v7, s[14:15]
	v_min_i32_e32 v3, v2, v3
	v_lshl_add_u32 v4, v6, 3, v37
	v_cmp_lt_i32_e64 s[14:15], v7, v3
	; wave barrier
	s_and_saveexec_b64 s[16:17], s[14:15]
	s_cbranch_execz .LBB2_258
; %bb.251:
	v_lshlrev_b32_e32 v5, 3, v39
	v_lshlrev_b32_e32 v8, 3, v2
	v_add3_u32 v5, v37, v5, v8
	s_mov_b64 s[18:19], 0
                                        ; implicit-def: $sgpr20_sgpr21
	s_branch .LBB2_254
.LBB2_252:                              ;   in Loop: Header=BB2_254 Depth=1
	s_or_b64 exec, exec, s[26:27]
	s_andn2_b64 s[14:15], s[20:21], exec
	s_and_b64 s[20:21], s[24:25], exec
	s_or_b64 s[20:21], s[14:15], s[20:21]
.LBB2_253:                              ;   in Loop: Header=BB2_254 Depth=1
	s_or_b64 exec, exec, s[22:23]
	v_add_u32_e32 v9, 1, v8
	v_cndmask_b32_e64 v3, v3, v8, s[20:21]
	v_cndmask_b32_e64 v7, v9, v7, s[20:21]
	v_cmp_ge_i32_e64 s[14:15], v7, v3
	s_or_b64 s[18:19], s[14:15], s[18:19]
	s_andn2_b64 exec, exec, s[18:19]
	s_cbranch_execz .LBB2_257
.LBB2_254:                              ; =>This Inner Loop Header: Depth=1
	v_sub_u32_e32 v8, v3, v7
	v_lshrrev_b32_e32 v8, 1, v8
	v_add_u32_e32 v8, v8, v7
	v_lshl_add_u32 v9, v8, 3, v4
	v_not_b32_e32 v10, v8
	v_lshl_add_u32 v10, v10, 3, v5
	ds_read_b32 v11, v9
	ds_read_b32 v12, v10
	s_or_b64 s[20:21], s[20:21], exec
	s_waitcnt lgkmcnt(0)
	v_cmp_nlt_f32_e64 s[14:15], v12, v11
	s_and_saveexec_b64 s[22:23], s[14:15]
	s_cbranch_execz .LBB2_253
; %bb.255:                              ;   in Loop: Header=BB2_254 Depth=1
	v_cmp_eq_f32_e64 s[14:15], v12, v11
	s_mov_b64 s[24:25], 0
	s_and_saveexec_b64 s[26:27], s[14:15]
	s_cbranch_execz .LBB2_252
; %bb.256:                              ;   in Loop: Header=BB2_254 Depth=1
	ds_read_b32 v10, v10 offset:4
	ds_read_b32 v9, v9 offset:4
	s_waitcnt lgkmcnt(0)
	v_cmp_lt_f32_e64 s[14:15], v10, v9
	s_and_b64 s[24:25], s[14:15], exec
	s_branch .LBB2_252
.LBB2_257:
	s_or_b64 exec, exec, s[18:19]
.LBB2_258:
	s_or_b64 exec, exec, s[16:17]
	v_add_u32_e32 v2, v39, v2
	v_sub_u32_e32 v10, v2, v7
	v_lshl_add_u32 v12, v10, 3, v37
	ds_read_b64 v[2:3], v12
	v_lshl_add_u32 v9, v7, 3, v4
	ds_read_b64 v[4:5], v9
	v_add_u32_e32 v11, v7, v6
	v_cmp_gt_i32_e64 s[14:15], v40, v10
	s_waitcnt lgkmcnt(1)
	v_mov_b32_e32 v6, v2
	v_mov_b32_e32 v7, v3
	s_mov_b64 s[18:19], 0
	s_and_saveexec_b64 s[20:21], s[14:15]
	s_cbranch_execz .LBB2_264
; %bb.259:
	v_cmp_gt_i32_e64 s[14:15], v39, v11
	s_waitcnt lgkmcnt(0)
	v_cmp_nlt_f32_e64 s[16:17], v2, v4
	s_and_b64 s[18:19], s[14:15], s[16:17]
	s_mov_b64 s[14:15], -1
	s_and_saveexec_b64 s[16:17], s[18:19]
	s_cbranch_execz .LBB2_263
; %bb.260:
	v_cmp_eq_f32_e64 s[14:15], v2, v4
	s_mov_b64 s[18:19], 0
	s_and_saveexec_b64 s[22:23], s[14:15]
; %bb.261:
	v_cmp_lt_f32_e64 s[14:15], v3, v5
	s_and_b64 s[18:19], s[14:15], exec
; %bb.262:
	s_or_b64 exec, exec, s[22:23]
	s_orn2_b64 s[14:15], s[18:19], exec
.LBB2_263:
	s_or_b64 exec, exec, s[16:17]
	s_and_b64 s[18:19], s[14:15], exec
.LBB2_264:
	s_or_b64 exec, exec, s[20:21]
	s_xor_b64 s[14:15], s[18:19], -1
                                        ; implicit-def: $vgpr8
	s_and_saveexec_b64 s[16:17], s[14:15]
	s_xor_b64 s[14:15], exec, s[16:17]
; %bb.265:
	ds_read_b64 v[8:9], v9 offset:8
                                        ; implicit-def: $vgpr12
; %bb.266:
	s_andn2_saveexec_b64 s[14:15], s[14:15]
	s_cbranch_execz .LBB2_268
; %bb.267:
	ds_read_b64 v[6:7], v12 offset:8
	s_waitcnt lgkmcnt(1)
	v_mov_b32_e32 v9, v5
	v_mov_b32_e32 v8, v4
.LBB2_268:
	s_or_b64 exec, exec, s[14:15]
	v_add_u32_e32 v12, 1, v10
	v_add_u32_e32 v13, 1, v11
	v_cndmask_b32_e64 v14, v10, v12, s[18:19]
	v_cndmask_b32_e64 v15, v13, v11, s[18:19]
	v_cmp_lt_i32_e64 s[14:15], v14, v40
	s_mov_b64 s[20:21], 0
	s_and_saveexec_b64 s[22:23], s[14:15]
	s_cbranch_execz .LBB2_274
; %bb.269:
	v_cmp_lt_i32_e64 s[14:15], v15, v39
	s_waitcnt lgkmcnt(0)
	v_cmp_nlt_f32_e64 s[16:17], v6, v8
	s_and_b64 s[20:21], s[14:15], s[16:17]
	s_mov_b64 s[14:15], -1
	s_and_saveexec_b64 s[16:17], s[20:21]
	s_cbranch_execz .LBB2_273
; %bb.270:
	v_cmp_eq_f32_e64 s[14:15], v6, v8
	s_mov_b64 s[20:21], 0
	s_and_saveexec_b64 s[24:25], s[14:15]
; %bb.271:
	v_cmp_lt_f32_e64 s[14:15], v7, v9
	s_and_b64 s[20:21], s[14:15], exec
; %bb.272:
	s_or_b64 exec, exec, s[24:25]
	s_orn2_b64 s[14:15], s[20:21], exec
.LBB2_273:
	s_or_b64 exec, exec, s[16:17]
	s_and_b64 s[20:21], s[14:15], exec
.LBB2_274:
	s_or_b64 exec, exec, s[22:23]
	s_xor_b64 s[14:15], s[20:21], -1
                                        ; implicit-def: $vgpr10
	s_and_saveexec_b64 s[16:17], s[14:15]
	s_xor_b64 s[14:15], exec, s[16:17]
; %bb.275:
	v_lshl_add_u32 v10, v15, 3, v37
	ds_read_b64 v[10:11], v10 offset:8
; %bb.276:
	s_or_saveexec_b64 s[14:15], s[14:15]
	s_waitcnt lgkmcnt(0)
	v_mov_b32_e32 v12, v6
	v_mov_b32_e32 v13, v7
	s_xor_b64 exec, exec, s[14:15]
; %bb.277:
	v_lshl_add_u32 v10, v14, 3, v37
	ds_read_b64 v[12:13], v10 offset:8
	v_mov_b32_e32 v11, v9
	v_mov_b32_e32 v10, v8
; %bb.278:
	s_or_b64 exec, exec, s[14:15]
	v_add_u32_e32 v16, 1, v14
	v_add_u32_e32 v17, 1, v15
	v_cndmask_b32_e64 v18, v14, v16, s[20:21]
	v_cndmask_b32_e64 v19, v17, v15, s[20:21]
	v_cmp_lt_i32_e64 s[14:15], v18, v40
	s_mov_b64 s[22:23], 0
	s_and_saveexec_b64 s[24:25], s[14:15]
	s_cbranch_execz .LBB2_284
; %bb.279:
	v_cmp_lt_i32_e64 s[14:15], v19, v39
	s_waitcnt lgkmcnt(0)
	v_cmp_nlt_f32_e64 s[16:17], v12, v10
	s_and_b64 s[22:23], s[14:15], s[16:17]
	s_mov_b64 s[14:15], -1
	s_and_saveexec_b64 s[16:17], s[22:23]
	s_cbranch_execz .LBB2_283
; %bb.280:
	v_cmp_eq_f32_e64 s[14:15], v12, v10
	s_mov_b64 s[22:23], 0
	s_and_saveexec_b64 s[26:27], s[14:15]
; %bb.281:
	v_cmp_lt_f32_e64 s[14:15], v13, v11
	s_and_b64 s[22:23], s[14:15], exec
; %bb.282:
	s_or_b64 exec, exec, s[26:27]
	s_orn2_b64 s[14:15], s[22:23], exec
.LBB2_283:
	s_or_b64 exec, exec, s[16:17]
	s_and_b64 s[22:23], s[14:15], exec
.LBB2_284:
	s_or_b64 exec, exec, s[24:25]
	s_xor_b64 s[14:15], s[22:23], -1
                                        ; implicit-def: $vgpr14
	s_and_saveexec_b64 s[16:17], s[14:15]
	s_xor_b64 s[14:15], exec, s[16:17]
; %bb.285:
	v_lshl_add_u32 v14, v19, 3, v37
	ds_read_b64 v[14:15], v14 offset:8
; %bb.286:
	s_or_saveexec_b64 s[14:15], s[14:15]
	s_waitcnt lgkmcnt(0)
	v_mov_b32_e32 v16, v12
	v_mov_b32_e32 v17, v13
	s_xor_b64 exec, exec, s[14:15]
; %bb.287:
	v_lshl_add_u32 v14, v18, 3, v37
	ds_read_b64 v[16:17], v14 offset:8
	v_mov_b32_e32 v15, v11
	v_mov_b32_e32 v14, v10
; %bb.288:
	s_or_b64 exec, exec, s[14:15]
	v_add_u32_e32 v20, 1, v18
	v_add_u32_e32 v21, 1, v19
	v_cndmask_b32_e64 v22, v18, v20, s[22:23]
	v_cndmask_b32_e64 v23, v21, v19, s[22:23]
	v_cmp_lt_i32_e64 s[14:15], v22, v40
	s_mov_b64 s[24:25], 0
	s_and_saveexec_b64 s[26:27], s[14:15]
	s_cbranch_execz .LBB2_294
; %bb.289:
	v_cmp_lt_i32_e64 s[14:15], v23, v39
	s_waitcnt lgkmcnt(0)
	v_cmp_nlt_f32_e64 s[16:17], v16, v14
	s_and_b64 s[24:25], s[14:15], s[16:17]
	s_mov_b64 s[14:15], -1
	s_and_saveexec_b64 s[16:17], s[24:25]
	s_cbranch_execz .LBB2_293
; %bb.290:
	v_cmp_eq_f32_e64 s[14:15], v16, v14
	s_mov_b64 s[24:25], 0
	s_and_saveexec_b64 s[28:29], s[14:15]
; %bb.291:
	v_cmp_lt_f32_e64 s[14:15], v17, v15
	s_and_b64 s[24:25], s[14:15], exec
; %bb.292:
	s_or_b64 exec, exec, s[28:29]
	s_orn2_b64 s[14:15], s[24:25], exec
.LBB2_293:
	s_or_b64 exec, exec, s[16:17]
	s_and_b64 s[24:25], s[14:15], exec
.LBB2_294:
	s_or_b64 exec, exec, s[26:27]
	s_xor_b64 s[14:15], s[24:25], -1
                                        ; implicit-def: $vgpr18
	s_and_saveexec_b64 s[16:17], s[14:15]
	s_xor_b64 s[14:15], exec, s[16:17]
; %bb.295:
	v_lshl_add_u32 v18, v23, 3, v37
	ds_read_b64 v[18:19], v18 offset:8
; %bb.296:
	s_or_saveexec_b64 s[14:15], s[14:15]
	s_waitcnt lgkmcnt(0)
	v_mov_b32_e32 v20, v16
	v_mov_b32_e32 v21, v17
	s_xor_b64 exec, exec, s[14:15]
; %bb.297:
	v_lshl_add_u32 v18, v22, 3, v37
	ds_read_b64 v[20:21], v18 offset:8
	v_mov_b32_e32 v19, v15
	v_mov_b32_e32 v18, v14
; %bb.298:
	s_or_b64 exec, exec, s[14:15]
	v_add_u32_e32 v24, 1, v22
	v_add_u32_e32 v25, 1, v23
	v_cndmask_b32_e64 v26, v22, v24, s[24:25]
	v_cndmask_b32_e64 v27, v25, v23, s[24:25]
	v_cmp_lt_i32_e64 s[14:15], v26, v40
	s_mov_b64 s[26:27], 0
	s_and_saveexec_b64 s[28:29], s[14:15]
	s_cbranch_execz .LBB2_304
; %bb.299:
	v_cmp_lt_i32_e64 s[14:15], v27, v39
	s_waitcnt lgkmcnt(0)
	v_cmp_nlt_f32_e64 s[16:17], v20, v18
	s_and_b64 s[26:27], s[14:15], s[16:17]
	s_mov_b64 s[14:15], -1
	s_and_saveexec_b64 s[16:17], s[26:27]
	s_cbranch_execz .LBB2_303
; %bb.300:
	v_cmp_eq_f32_e64 s[14:15], v20, v18
	s_mov_b64 s[26:27], 0
	s_and_saveexec_b64 s[30:31], s[14:15]
; %bb.301:
	v_cmp_lt_f32_e64 s[14:15], v21, v19
	s_and_b64 s[26:27], s[14:15], exec
; %bb.302:
	s_or_b64 exec, exec, s[30:31]
	s_orn2_b64 s[14:15], s[26:27], exec
.LBB2_303:
	s_or_b64 exec, exec, s[16:17]
	s_and_b64 s[26:27], s[14:15], exec
.LBB2_304:
	s_or_b64 exec, exec, s[28:29]
	s_xor_b64 s[14:15], s[26:27], -1
                                        ; implicit-def: $vgpr22
	s_and_saveexec_b64 s[16:17], s[14:15]
	s_xor_b64 s[14:15], exec, s[16:17]
; %bb.305:
	v_lshl_add_u32 v22, v27, 3, v37
	ds_read_b64 v[22:23], v22 offset:8
; %bb.306:
	s_or_saveexec_b64 s[14:15], s[14:15]
	s_waitcnt lgkmcnt(0)
	v_mov_b32_e32 v24, v20
	v_mov_b32_e32 v25, v21
	s_xor_b64 exec, exec, s[14:15]
; %bb.307:
	v_lshl_add_u32 v22, v26, 3, v37
	ds_read_b64 v[24:25], v22 offset:8
	v_mov_b32_e32 v23, v19
	v_mov_b32_e32 v22, v18
; %bb.308:
	s_or_b64 exec, exec, s[14:15]
	v_add_u32_e32 v28, 1, v26
	v_add_u32_e32 v29, 1, v27
	v_cndmask_b32_e64 v30, v26, v28, s[26:27]
	v_cndmask_b32_e64 v31, v29, v27, s[26:27]
	v_cmp_lt_i32_e64 s[14:15], v30, v40
	s_mov_b64 s[28:29], 0
	s_and_saveexec_b64 s[30:31], s[14:15]
	s_cbranch_execz .LBB2_314
; %bb.309:
	v_cmp_lt_i32_e64 s[14:15], v31, v39
	s_waitcnt lgkmcnt(0)
	v_cmp_nlt_f32_e64 s[16:17], v24, v22
	s_and_b64 s[28:29], s[14:15], s[16:17]
	s_mov_b64 s[14:15], -1
	s_and_saveexec_b64 s[16:17], s[28:29]
	s_cbranch_execz .LBB2_313
; %bb.310:
	v_cmp_eq_f32_e64 s[14:15], v24, v22
	s_mov_b64 s[28:29], 0
	s_and_saveexec_b64 s[34:35], s[14:15]
; %bb.311:
	v_cmp_lt_f32_e64 s[14:15], v25, v23
	s_and_b64 s[28:29], s[14:15], exec
; %bb.312:
	s_or_b64 exec, exec, s[34:35]
	s_orn2_b64 s[14:15], s[28:29], exec
.LBB2_313:
	s_or_b64 exec, exec, s[16:17]
	s_and_b64 s[28:29], s[14:15], exec
.LBB2_314:
	s_or_b64 exec, exec, s[30:31]
	s_xor_b64 s[14:15], s[28:29], -1
                                        ; implicit-def: $vgpr26
	s_and_saveexec_b64 s[16:17], s[14:15]
	s_xor_b64 s[14:15], exec, s[16:17]
; %bb.315:
	v_lshl_add_u32 v26, v31, 3, v37
	ds_read_b64 v[26:27], v26 offset:8
; %bb.316:
	s_or_saveexec_b64 s[14:15], s[14:15]
	s_waitcnt lgkmcnt(0)
	v_mov_b32_e32 v28, v24
	v_mov_b32_e32 v29, v25
	s_xor_b64 exec, exec, s[14:15]
; %bb.317:
	v_lshl_add_u32 v26, v30, 3, v37
	ds_read_b64 v[28:29], v26 offset:8
	v_mov_b32_e32 v27, v23
	v_mov_b32_e32 v26, v22
; %bb.318:
	s_or_b64 exec, exec, s[14:15]
	v_add_u32_e32 v32, 1, v30
	v_add_u32_e32 v33, 1, v31
	v_cndmask_b32_e64 v42, v30, v32, s[28:29]
	v_cndmask_b32_e64 v41, v33, v31, s[28:29]
	v_cmp_lt_i32_e64 s[14:15], v42, v40
	s_mov_b64 s[30:31], 0
	s_and_saveexec_b64 s[34:35], s[14:15]
	s_cbranch_execz .LBB2_324
; %bb.319:
	v_cmp_lt_i32_e64 s[14:15], v41, v39
	s_waitcnt lgkmcnt(0)
	v_cmp_nlt_f32_e64 s[16:17], v28, v26
	s_and_b64 s[30:31], s[14:15], s[16:17]
	s_mov_b64 s[14:15], -1
	s_and_saveexec_b64 s[16:17], s[30:31]
	s_cbranch_execz .LBB2_323
; %bb.320:
	v_cmp_eq_f32_e64 s[14:15], v28, v26
	s_mov_b64 s[30:31], 0
	s_and_saveexec_b64 s[36:37], s[14:15]
; %bb.321:
	v_cmp_lt_f32_e64 s[14:15], v29, v27
	s_and_b64 s[30:31], s[14:15], exec
; %bb.322:
	s_or_b64 exec, exec, s[36:37]
	s_orn2_b64 s[14:15], s[30:31], exec
.LBB2_323:
	s_or_b64 exec, exec, s[16:17]
	s_and_b64 s[30:31], s[14:15], exec
.LBB2_324:
	s_or_b64 exec, exec, s[34:35]
	s_xor_b64 s[14:15], s[30:31], -1
                                        ; implicit-def: $vgpr30
	s_and_saveexec_b64 s[16:17], s[14:15]
	s_xor_b64 s[14:15], exec, s[16:17]
; %bb.325:
	v_lshl_add_u32 v30, v41, 3, v37
	ds_read_b64 v[30:31], v30 offset:8
; %bb.326:
	s_or_saveexec_b64 s[14:15], s[14:15]
	s_waitcnt lgkmcnt(0)
	v_mov_b32_e32 v32, v28
	v_mov_b32_e32 v33, v29
	s_xor_b64 exec, exec, s[14:15]
; %bb.327:
	v_lshl_add_u32 v30, v42, 3, v37
	ds_read_b64 v[32:33], v30 offset:8
	v_mov_b32_e32 v31, v27
	v_mov_b32_e32 v30, v26
; %bb.328:
	s_or_b64 exec, exec, s[14:15]
	v_add_u32_e32 v43, 1, v42
	v_cndmask_b32_e64 v42, v42, v43, s[30:31]
	v_cmp_lt_i32_e64 s[14:15], v42, v40
	s_mov_b64 s[16:17], 0
	s_and_saveexec_b64 s[34:35], s[14:15]
	s_cbranch_execz .LBB2_334
; %bb.329:
	v_add_u32_e32 v40, 1, v41
	v_cndmask_b32_e64 v40, v40, v41, s[30:31]
	v_cmp_lt_i32_e64 s[14:15], v40, v39
	s_waitcnt lgkmcnt(0)
	v_cmp_nlt_f32_e64 s[16:17], v32, v30
	s_and_b64 s[36:37], s[14:15], s[16:17]
	s_mov_b64 s[14:15], -1
	s_and_saveexec_b64 s[16:17], s[36:37]
	s_cbranch_execz .LBB2_333
; %bb.330:
	v_cmp_eq_f32_e64 s[14:15], v32, v30
	s_mov_b64 s[36:37], 0
	s_and_saveexec_b64 s[38:39], s[14:15]
; %bb.331:
	v_cmp_lt_f32_e64 s[14:15], v33, v31
	s_and_b64 s[36:37], s[14:15], exec
; %bb.332:
	s_or_b64 exec, exec, s[38:39]
	s_orn2_b64 s[14:15], s[36:37], exec
.LBB2_333:
	s_or_b64 exec, exec, s[16:17]
	s_and_b64 s[16:17], s[14:15], exec
.LBB2_334:
	s_or_b64 exec, exec, s[34:35]
	v_cndmask_b32_e64 v6, v8, v6, s[20:21]
	v_cndmask_b32_e64 v7, v9, v7, s[20:21]
	;; [unrolled: 1-line block ×14, first 2 shown]
	s_waitcnt lgkmcnt(0)
	v_cndmask_b32_e64 v4, v30, v32, s[16:17]
	v_cndmask_b32_e64 v5, v31, v33, s[16:17]
	; wave barrier
	ds_write2_b64 v38, v[2:3], v[6:7] offset1:1
	ds_write2_b64 v38, v[10:11], v[14:15] offset0:2 offset1:3
	ds_write2_b64 v38, v[18:19], v[22:23] offset0:4 offset1:5
	;; [unrolled: 1-line block ×3, first 2 shown]
	v_and_b32_e32 v3, 0xc0, v36
	v_min_i32_e32 v6, v34, v3
	v_add_u32_e32 v3, 32, v6
	v_min_i32_e32 v39, v34, v3
	v_add_u32_e32 v3, 32, v39
	v_and_b32_e32 v2, 56, v36
	v_min_i32_e32 v40, v34, v3
	v_min_i32_e32 v2, v34, v2
	v_sub_u32_e32 v5, v40, v39
	v_sub_u32_e32 v3, v39, v6
	;; [unrolled: 1-line block ×3, first 2 shown]
	v_cmp_ge_i32_e64 s[14:15], v2, v5
	v_cndmask_b32_e64 v7, 0, v7, s[14:15]
	v_min_i32_e32 v3, v2, v3
	v_lshl_add_u32 v4, v6, 3, v37
	v_cmp_lt_i32_e64 s[14:15], v7, v3
	; wave barrier
	s_and_saveexec_b64 s[16:17], s[14:15]
	s_cbranch_execz .LBB2_342
; %bb.335:
	v_lshlrev_b32_e32 v5, 3, v39
	v_lshlrev_b32_e32 v8, 3, v2
	v_add3_u32 v5, v37, v5, v8
	s_mov_b64 s[18:19], 0
                                        ; implicit-def: $sgpr20_sgpr21
	s_branch .LBB2_338
.LBB2_336:                              ;   in Loop: Header=BB2_338 Depth=1
	s_or_b64 exec, exec, s[26:27]
	s_andn2_b64 s[14:15], s[20:21], exec
	s_and_b64 s[20:21], s[24:25], exec
	s_or_b64 s[20:21], s[14:15], s[20:21]
.LBB2_337:                              ;   in Loop: Header=BB2_338 Depth=1
	s_or_b64 exec, exec, s[22:23]
	v_add_u32_e32 v9, 1, v8
	v_cndmask_b32_e64 v3, v3, v8, s[20:21]
	v_cndmask_b32_e64 v7, v9, v7, s[20:21]
	v_cmp_ge_i32_e64 s[14:15], v7, v3
	s_or_b64 s[18:19], s[14:15], s[18:19]
	s_andn2_b64 exec, exec, s[18:19]
	s_cbranch_execz .LBB2_341
.LBB2_338:                              ; =>This Inner Loop Header: Depth=1
	v_sub_u32_e32 v8, v3, v7
	v_lshrrev_b32_e32 v8, 1, v8
	v_add_u32_e32 v8, v8, v7
	v_lshl_add_u32 v9, v8, 3, v4
	v_not_b32_e32 v10, v8
	v_lshl_add_u32 v10, v10, 3, v5
	ds_read_b32 v11, v9
	ds_read_b32 v12, v10
	s_or_b64 s[20:21], s[20:21], exec
	s_waitcnt lgkmcnt(0)
	v_cmp_nlt_f32_e64 s[14:15], v12, v11
	s_and_saveexec_b64 s[22:23], s[14:15]
	s_cbranch_execz .LBB2_337
; %bb.339:                              ;   in Loop: Header=BB2_338 Depth=1
	v_cmp_eq_f32_e64 s[14:15], v12, v11
	s_mov_b64 s[24:25], 0
	s_and_saveexec_b64 s[26:27], s[14:15]
	s_cbranch_execz .LBB2_336
; %bb.340:                              ;   in Loop: Header=BB2_338 Depth=1
	ds_read_b32 v10, v10 offset:4
	ds_read_b32 v9, v9 offset:4
	s_waitcnt lgkmcnt(0)
	v_cmp_lt_f32_e64 s[14:15], v10, v9
	s_and_b64 s[24:25], s[14:15], exec
	s_branch .LBB2_336
.LBB2_341:
	s_or_b64 exec, exec, s[18:19]
.LBB2_342:
	s_or_b64 exec, exec, s[16:17]
	v_add_u32_e32 v2, v39, v2
	v_sub_u32_e32 v10, v2, v7
	v_lshl_add_u32 v12, v10, 3, v37
	ds_read_b64 v[2:3], v12
	v_lshl_add_u32 v9, v7, 3, v4
	ds_read_b64 v[4:5], v9
	v_add_u32_e32 v11, v7, v6
	v_cmp_gt_i32_e64 s[14:15], v40, v10
	s_waitcnt lgkmcnt(1)
	v_mov_b32_e32 v6, v2
	v_mov_b32_e32 v7, v3
	s_mov_b64 s[18:19], 0
	s_and_saveexec_b64 s[20:21], s[14:15]
	s_cbranch_execz .LBB2_348
; %bb.343:
	v_cmp_gt_i32_e64 s[14:15], v39, v11
	s_waitcnt lgkmcnt(0)
	v_cmp_nlt_f32_e64 s[16:17], v2, v4
	s_and_b64 s[18:19], s[14:15], s[16:17]
	s_mov_b64 s[14:15], -1
	s_and_saveexec_b64 s[16:17], s[18:19]
	s_cbranch_execz .LBB2_347
; %bb.344:
	v_cmp_eq_f32_e64 s[14:15], v2, v4
	s_mov_b64 s[18:19], 0
	s_and_saveexec_b64 s[22:23], s[14:15]
; %bb.345:
	v_cmp_lt_f32_e64 s[14:15], v3, v5
	s_and_b64 s[18:19], s[14:15], exec
; %bb.346:
	s_or_b64 exec, exec, s[22:23]
	s_orn2_b64 s[14:15], s[18:19], exec
.LBB2_347:
	s_or_b64 exec, exec, s[16:17]
	s_and_b64 s[18:19], s[14:15], exec
.LBB2_348:
	s_or_b64 exec, exec, s[20:21]
	s_xor_b64 s[14:15], s[18:19], -1
                                        ; implicit-def: $vgpr8
	s_and_saveexec_b64 s[16:17], s[14:15]
	s_xor_b64 s[14:15], exec, s[16:17]
; %bb.349:
	ds_read_b64 v[8:9], v9 offset:8
                                        ; implicit-def: $vgpr12
; %bb.350:
	s_andn2_saveexec_b64 s[14:15], s[14:15]
	s_cbranch_execz .LBB2_352
; %bb.351:
	ds_read_b64 v[6:7], v12 offset:8
	s_waitcnt lgkmcnt(1)
	v_mov_b32_e32 v9, v5
	v_mov_b32_e32 v8, v4
.LBB2_352:
	s_or_b64 exec, exec, s[14:15]
	v_add_u32_e32 v12, 1, v10
	v_add_u32_e32 v13, 1, v11
	v_cndmask_b32_e64 v14, v10, v12, s[18:19]
	v_cndmask_b32_e64 v15, v13, v11, s[18:19]
	v_cmp_lt_i32_e64 s[14:15], v14, v40
	s_mov_b64 s[20:21], 0
	s_and_saveexec_b64 s[22:23], s[14:15]
	s_cbranch_execz .LBB2_358
; %bb.353:
	v_cmp_lt_i32_e64 s[14:15], v15, v39
	s_waitcnt lgkmcnt(0)
	v_cmp_nlt_f32_e64 s[16:17], v6, v8
	s_and_b64 s[20:21], s[14:15], s[16:17]
	s_mov_b64 s[14:15], -1
	s_and_saveexec_b64 s[16:17], s[20:21]
	s_cbranch_execz .LBB2_357
; %bb.354:
	v_cmp_eq_f32_e64 s[14:15], v6, v8
	s_mov_b64 s[20:21], 0
	s_and_saveexec_b64 s[24:25], s[14:15]
; %bb.355:
	v_cmp_lt_f32_e64 s[14:15], v7, v9
	s_and_b64 s[20:21], s[14:15], exec
; %bb.356:
	s_or_b64 exec, exec, s[24:25]
	s_orn2_b64 s[14:15], s[20:21], exec
.LBB2_357:
	s_or_b64 exec, exec, s[16:17]
	s_and_b64 s[20:21], s[14:15], exec
.LBB2_358:
	s_or_b64 exec, exec, s[22:23]
	s_xor_b64 s[14:15], s[20:21], -1
                                        ; implicit-def: $vgpr10
	s_and_saveexec_b64 s[16:17], s[14:15]
	s_xor_b64 s[14:15], exec, s[16:17]
; %bb.359:
	v_lshl_add_u32 v10, v15, 3, v37
	ds_read_b64 v[10:11], v10 offset:8
; %bb.360:
	s_or_saveexec_b64 s[14:15], s[14:15]
	s_waitcnt lgkmcnt(0)
	v_mov_b32_e32 v12, v6
	v_mov_b32_e32 v13, v7
	s_xor_b64 exec, exec, s[14:15]
; %bb.361:
	v_lshl_add_u32 v10, v14, 3, v37
	ds_read_b64 v[12:13], v10 offset:8
	v_mov_b32_e32 v11, v9
	v_mov_b32_e32 v10, v8
; %bb.362:
	s_or_b64 exec, exec, s[14:15]
	v_add_u32_e32 v16, 1, v14
	v_add_u32_e32 v17, 1, v15
	v_cndmask_b32_e64 v18, v14, v16, s[20:21]
	v_cndmask_b32_e64 v19, v17, v15, s[20:21]
	v_cmp_lt_i32_e64 s[14:15], v18, v40
	s_mov_b64 s[22:23], 0
	s_and_saveexec_b64 s[24:25], s[14:15]
	s_cbranch_execz .LBB2_368
; %bb.363:
	v_cmp_lt_i32_e64 s[14:15], v19, v39
	s_waitcnt lgkmcnt(0)
	v_cmp_nlt_f32_e64 s[16:17], v12, v10
	s_and_b64 s[22:23], s[14:15], s[16:17]
	s_mov_b64 s[14:15], -1
	s_and_saveexec_b64 s[16:17], s[22:23]
	s_cbranch_execz .LBB2_367
; %bb.364:
	v_cmp_eq_f32_e64 s[14:15], v12, v10
	s_mov_b64 s[22:23], 0
	s_and_saveexec_b64 s[26:27], s[14:15]
; %bb.365:
	v_cmp_lt_f32_e64 s[14:15], v13, v11
	s_and_b64 s[22:23], s[14:15], exec
; %bb.366:
	s_or_b64 exec, exec, s[26:27]
	s_orn2_b64 s[14:15], s[22:23], exec
.LBB2_367:
	s_or_b64 exec, exec, s[16:17]
	s_and_b64 s[22:23], s[14:15], exec
.LBB2_368:
	s_or_b64 exec, exec, s[24:25]
	s_xor_b64 s[14:15], s[22:23], -1
                                        ; implicit-def: $vgpr14
	s_and_saveexec_b64 s[16:17], s[14:15]
	s_xor_b64 s[14:15], exec, s[16:17]
; %bb.369:
	v_lshl_add_u32 v14, v19, 3, v37
	ds_read_b64 v[14:15], v14 offset:8
; %bb.370:
	s_or_saveexec_b64 s[14:15], s[14:15]
	s_waitcnt lgkmcnt(0)
	v_mov_b32_e32 v16, v12
	v_mov_b32_e32 v17, v13
	s_xor_b64 exec, exec, s[14:15]
; %bb.371:
	v_lshl_add_u32 v14, v18, 3, v37
	ds_read_b64 v[16:17], v14 offset:8
	v_mov_b32_e32 v15, v11
	v_mov_b32_e32 v14, v10
; %bb.372:
	s_or_b64 exec, exec, s[14:15]
	v_add_u32_e32 v20, 1, v18
	v_add_u32_e32 v21, 1, v19
	v_cndmask_b32_e64 v22, v18, v20, s[22:23]
	v_cndmask_b32_e64 v23, v21, v19, s[22:23]
	v_cmp_lt_i32_e64 s[14:15], v22, v40
	s_mov_b64 s[24:25], 0
	s_and_saveexec_b64 s[26:27], s[14:15]
	s_cbranch_execz .LBB2_378
; %bb.373:
	v_cmp_lt_i32_e64 s[14:15], v23, v39
	s_waitcnt lgkmcnt(0)
	v_cmp_nlt_f32_e64 s[16:17], v16, v14
	s_and_b64 s[24:25], s[14:15], s[16:17]
	s_mov_b64 s[14:15], -1
	s_and_saveexec_b64 s[16:17], s[24:25]
	s_cbranch_execz .LBB2_377
; %bb.374:
	v_cmp_eq_f32_e64 s[14:15], v16, v14
	s_mov_b64 s[24:25], 0
	s_and_saveexec_b64 s[28:29], s[14:15]
; %bb.375:
	v_cmp_lt_f32_e64 s[14:15], v17, v15
	s_and_b64 s[24:25], s[14:15], exec
; %bb.376:
	s_or_b64 exec, exec, s[28:29]
	s_orn2_b64 s[14:15], s[24:25], exec
.LBB2_377:
	s_or_b64 exec, exec, s[16:17]
	s_and_b64 s[24:25], s[14:15], exec
.LBB2_378:
	s_or_b64 exec, exec, s[26:27]
	s_xor_b64 s[14:15], s[24:25], -1
                                        ; implicit-def: $vgpr18
	s_and_saveexec_b64 s[16:17], s[14:15]
	s_xor_b64 s[14:15], exec, s[16:17]
; %bb.379:
	v_lshl_add_u32 v18, v23, 3, v37
	ds_read_b64 v[18:19], v18 offset:8
; %bb.380:
	s_or_saveexec_b64 s[14:15], s[14:15]
	s_waitcnt lgkmcnt(0)
	v_mov_b32_e32 v20, v16
	v_mov_b32_e32 v21, v17
	s_xor_b64 exec, exec, s[14:15]
; %bb.381:
	v_lshl_add_u32 v18, v22, 3, v37
	ds_read_b64 v[20:21], v18 offset:8
	v_mov_b32_e32 v19, v15
	v_mov_b32_e32 v18, v14
; %bb.382:
	s_or_b64 exec, exec, s[14:15]
	v_add_u32_e32 v24, 1, v22
	v_add_u32_e32 v25, 1, v23
	v_cndmask_b32_e64 v26, v22, v24, s[24:25]
	v_cndmask_b32_e64 v27, v25, v23, s[24:25]
	v_cmp_lt_i32_e64 s[14:15], v26, v40
	s_mov_b64 s[26:27], 0
	s_and_saveexec_b64 s[28:29], s[14:15]
	s_cbranch_execz .LBB2_388
; %bb.383:
	v_cmp_lt_i32_e64 s[14:15], v27, v39
	s_waitcnt lgkmcnt(0)
	v_cmp_nlt_f32_e64 s[16:17], v20, v18
	s_and_b64 s[26:27], s[14:15], s[16:17]
	s_mov_b64 s[14:15], -1
	s_and_saveexec_b64 s[16:17], s[26:27]
	s_cbranch_execz .LBB2_387
; %bb.384:
	v_cmp_eq_f32_e64 s[14:15], v20, v18
	s_mov_b64 s[26:27], 0
	s_and_saveexec_b64 s[30:31], s[14:15]
; %bb.385:
	v_cmp_lt_f32_e64 s[14:15], v21, v19
	s_and_b64 s[26:27], s[14:15], exec
; %bb.386:
	s_or_b64 exec, exec, s[30:31]
	s_orn2_b64 s[14:15], s[26:27], exec
.LBB2_387:
	s_or_b64 exec, exec, s[16:17]
	s_and_b64 s[26:27], s[14:15], exec
.LBB2_388:
	s_or_b64 exec, exec, s[28:29]
	s_xor_b64 s[14:15], s[26:27], -1
                                        ; implicit-def: $vgpr22
	s_and_saveexec_b64 s[16:17], s[14:15]
	s_xor_b64 s[14:15], exec, s[16:17]
; %bb.389:
	v_lshl_add_u32 v22, v27, 3, v37
	ds_read_b64 v[22:23], v22 offset:8
; %bb.390:
	s_or_saveexec_b64 s[14:15], s[14:15]
	s_waitcnt lgkmcnt(0)
	v_mov_b32_e32 v24, v20
	v_mov_b32_e32 v25, v21
	s_xor_b64 exec, exec, s[14:15]
; %bb.391:
	v_lshl_add_u32 v22, v26, 3, v37
	ds_read_b64 v[24:25], v22 offset:8
	v_mov_b32_e32 v23, v19
	v_mov_b32_e32 v22, v18
; %bb.392:
	s_or_b64 exec, exec, s[14:15]
	v_add_u32_e32 v28, 1, v26
	v_add_u32_e32 v29, 1, v27
	v_cndmask_b32_e64 v30, v26, v28, s[26:27]
	v_cndmask_b32_e64 v31, v29, v27, s[26:27]
	v_cmp_lt_i32_e64 s[14:15], v30, v40
	s_mov_b64 s[28:29], 0
	s_and_saveexec_b64 s[30:31], s[14:15]
	s_cbranch_execz .LBB2_398
; %bb.393:
	v_cmp_lt_i32_e64 s[14:15], v31, v39
	s_waitcnt lgkmcnt(0)
	v_cmp_nlt_f32_e64 s[16:17], v24, v22
	s_and_b64 s[28:29], s[14:15], s[16:17]
	s_mov_b64 s[14:15], -1
	s_and_saveexec_b64 s[16:17], s[28:29]
	s_cbranch_execz .LBB2_397
; %bb.394:
	v_cmp_eq_f32_e64 s[14:15], v24, v22
	s_mov_b64 s[28:29], 0
	s_and_saveexec_b64 s[34:35], s[14:15]
; %bb.395:
	v_cmp_lt_f32_e64 s[14:15], v25, v23
	s_and_b64 s[28:29], s[14:15], exec
; %bb.396:
	s_or_b64 exec, exec, s[34:35]
	s_orn2_b64 s[14:15], s[28:29], exec
.LBB2_397:
	s_or_b64 exec, exec, s[16:17]
	s_and_b64 s[28:29], s[14:15], exec
.LBB2_398:
	s_or_b64 exec, exec, s[30:31]
	s_xor_b64 s[14:15], s[28:29], -1
                                        ; implicit-def: $vgpr26
	s_and_saveexec_b64 s[16:17], s[14:15]
	s_xor_b64 s[14:15], exec, s[16:17]
; %bb.399:
	v_lshl_add_u32 v26, v31, 3, v37
	ds_read_b64 v[26:27], v26 offset:8
; %bb.400:
	s_or_saveexec_b64 s[14:15], s[14:15]
	s_waitcnt lgkmcnt(0)
	v_mov_b32_e32 v28, v24
	v_mov_b32_e32 v29, v25
	s_xor_b64 exec, exec, s[14:15]
; %bb.401:
	v_lshl_add_u32 v26, v30, 3, v37
	ds_read_b64 v[28:29], v26 offset:8
	v_mov_b32_e32 v27, v23
	v_mov_b32_e32 v26, v22
; %bb.402:
	s_or_b64 exec, exec, s[14:15]
	v_add_u32_e32 v32, 1, v30
	v_add_u32_e32 v33, 1, v31
	v_cndmask_b32_e64 v42, v30, v32, s[28:29]
	v_cndmask_b32_e64 v41, v33, v31, s[28:29]
	v_cmp_lt_i32_e64 s[14:15], v42, v40
	s_mov_b64 s[30:31], 0
	s_and_saveexec_b64 s[34:35], s[14:15]
	s_cbranch_execz .LBB2_408
; %bb.403:
	v_cmp_lt_i32_e64 s[14:15], v41, v39
	s_waitcnt lgkmcnt(0)
	v_cmp_nlt_f32_e64 s[16:17], v28, v26
	s_and_b64 s[30:31], s[14:15], s[16:17]
	s_mov_b64 s[14:15], -1
	s_and_saveexec_b64 s[16:17], s[30:31]
	s_cbranch_execz .LBB2_407
; %bb.404:
	v_cmp_eq_f32_e64 s[14:15], v28, v26
	s_mov_b64 s[30:31], 0
	s_and_saveexec_b64 s[36:37], s[14:15]
; %bb.405:
	v_cmp_lt_f32_e64 s[14:15], v29, v27
	s_and_b64 s[30:31], s[14:15], exec
; %bb.406:
	s_or_b64 exec, exec, s[36:37]
	s_orn2_b64 s[14:15], s[30:31], exec
.LBB2_407:
	s_or_b64 exec, exec, s[16:17]
	s_and_b64 s[30:31], s[14:15], exec
.LBB2_408:
	s_or_b64 exec, exec, s[34:35]
	s_xor_b64 s[14:15], s[30:31], -1
                                        ; implicit-def: $vgpr30
	s_and_saveexec_b64 s[16:17], s[14:15]
	s_xor_b64 s[14:15], exec, s[16:17]
; %bb.409:
	v_lshl_add_u32 v30, v41, 3, v37
	ds_read_b64 v[30:31], v30 offset:8
; %bb.410:
	s_or_saveexec_b64 s[14:15], s[14:15]
	s_waitcnt lgkmcnt(0)
	v_mov_b32_e32 v32, v28
	v_mov_b32_e32 v33, v29
	s_xor_b64 exec, exec, s[14:15]
; %bb.411:
	v_lshl_add_u32 v30, v42, 3, v37
	ds_read_b64 v[32:33], v30 offset:8
	v_mov_b32_e32 v31, v27
	v_mov_b32_e32 v30, v26
; %bb.412:
	s_or_b64 exec, exec, s[14:15]
	v_add_u32_e32 v43, 1, v42
	v_cndmask_b32_e64 v42, v42, v43, s[30:31]
	v_cmp_lt_i32_e64 s[14:15], v42, v40
	s_mov_b64 s[16:17], 0
	s_and_saveexec_b64 s[34:35], s[14:15]
	s_cbranch_execz .LBB2_418
; %bb.413:
	v_add_u32_e32 v40, 1, v41
	v_cndmask_b32_e64 v40, v40, v41, s[30:31]
	v_cmp_lt_i32_e64 s[14:15], v40, v39
	s_waitcnt lgkmcnt(0)
	v_cmp_nlt_f32_e64 s[16:17], v32, v30
	s_and_b64 s[36:37], s[14:15], s[16:17]
	s_mov_b64 s[14:15], -1
	s_and_saveexec_b64 s[16:17], s[36:37]
	s_cbranch_execz .LBB2_417
; %bb.414:
	v_cmp_eq_f32_e64 s[14:15], v32, v30
	s_mov_b64 s[36:37], 0
	s_and_saveexec_b64 s[38:39], s[14:15]
; %bb.415:
	v_cmp_lt_f32_e64 s[14:15], v33, v31
	s_and_b64 s[36:37], s[14:15], exec
; %bb.416:
	s_or_b64 exec, exec, s[38:39]
	s_orn2_b64 s[14:15], s[36:37], exec
.LBB2_417:
	s_or_b64 exec, exec, s[16:17]
	s_and_b64 s[16:17], s[14:15], exec
.LBB2_418:
	s_or_b64 exec, exec, s[34:35]
	v_cndmask_b32_e64 v6, v8, v6, s[20:21]
	v_cndmask_b32_e64 v7, v9, v7, s[20:21]
	;; [unrolled: 1-line block ×14, first 2 shown]
	s_waitcnt lgkmcnt(0)
	v_cndmask_b32_e64 v4, v30, v32, s[16:17]
	v_cndmask_b32_e64 v5, v31, v33, s[16:17]
	; wave barrier
	ds_write2_b64 v38, v[2:3], v[6:7] offset1:1
	ds_write2_b64 v38, v[10:11], v[14:15] offset0:2 offset1:3
	ds_write2_b64 v38, v[18:19], v[22:23] offset0:4 offset1:5
	;; [unrolled: 1-line block ×3, first 2 shown]
	v_and_b32_e32 v3, 0x80, v36
	v_min_i32_e32 v6, v34, v3
	v_add_u32_e32 v3, 64, v6
	v_and_b32_e32 v2, 0x78, v36
	v_min_i32_e32 v36, v34, v3
	v_add_u32_e32 v3, 64, v36
	v_min_i32_e32 v39, v34, v3
	v_min_i32_e32 v2, v34, v2
	v_sub_u32_e32 v5, v39, v36
	v_sub_u32_e32 v3, v36, v6
	;; [unrolled: 1-line block ×3, first 2 shown]
	v_cmp_ge_i32_e64 s[14:15], v2, v5
	v_cndmask_b32_e64 v7, 0, v7, s[14:15]
	v_min_i32_e32 v3, v2, v3
	v_lshl_add_u32 v4, v6, 3, v37
	v_cmp_lt_i32_e64 s[14:15], v7, v3
	; wave barrier
	s_and_saveexec_b64 s[16:17], s[14:15]
	s_cbranch_execz .LBB2_426
; %bb.419:
	v_lshlrev_b32_e32 v5, 3, v36
	v_lshlrev_b32_e32 v8, 3, v2
	v_add3_u32 v5, v37, v5, v8
	s_mov_b64 s[18:19], 0
                                        ; implicit-def: $sgpr20_sgpr21
	s_branch .LBB2_422
.LBB2_420:                              ;   in Loop: Header=BB2_422 Depth=1
	s_or_b64 exec, exec, s[26:27]
	s_andn2_b64 s[14:15], s[20:21], exec
	s_and_b64 s[20:21], s[24:25], exec
	s_or_b64 s[20:21], s[14:15], s[20:21]
.LBB2_421:                              ;   in Loop: Header=BB2_422 Depth=1
	s_or_b64 exec, exec, s[22:23]
	v_add_u32_e32 v9, 1, v8
	v_cndmask_b32_e64 v3, v3, v8, s[20:21]
	v_cndmask_b32_e64 v7, v9, v7, s[20:21]
	v_cmp_ge_i32_e64 s[14:15], v7, v3
	s_or_b64 s[18:19], s[14:15], s[18:19]
	s_andn2_b64 exec, exec, s[18:19]
	s_cbranch_execz .LBB2_425
.LBB2_422:                              ; =>This Inner Loop Header: Depth=1
	v_sub_u32_e32 v8, v3, v7
	v_lshrrev_b32_e32 v8, 1, v8
	v_add_u32_e32 v8, v8, v7
	v_lshl_add_u32 v9, v8, 3, v4
	v_not_b32_e32 v10, v8
	v_lshl_add_u32 v10, v10, 3, v5
	ds_read_b32 v11, v9
	ds_read_b32 v12, v10
	s_or_b64 s[20:21], s[20:21], exec
	s_waitcnt lgkmcnt(0)
	v_cmp_nlt_f32_e64 s[14:15], v12, v11
	s_and_saveexec_b64 s[22:23], s[14:15]
	s_cbranch_execz .LBB2_421
; %bb.423:                              ;   in Loop: Header=BB2_422 Depth=1
	v_cmp_eq_f32_e64 s[14:15], v12, v11
	s_mov_b64 s[24:25], 0
	s_and_saveexec_b64 s[26:27], s[14:15]
	s_cbranch_execz .LBB2_420
; %bb.424:                              ;   in Loop: Header=BB2_422 Depth=1
	ds_read_b32 v10, v10 offset:4
	ds_read_b32 v9, v9 offset:4
	s_waitcnt lgkmcnt(0)
	v_cmp_lt_f32_e64 s[14:15], v10, v9
	s_and_b64 s[24:25], s[14:15], exec
	s_branch .LBB2_420
.LBB2_425:
	s_or_b64 exec, exec, s[18:19]
.LBB2_426:
	s_or_b64 exec, exec, s[16:17]
	v_add_u32_e32 v2, v36, v2
	v_sub_u32_e32 v10, v2, v7
	v_lshl_add_u32 v12, v10, 3, v37
	ds_read_b64 v[2:3], v12
	v_lshl_add_u32 v9, v7, 3, v4
	ds_read_b64 v[4:5], v9
	v_add_u32_e32 v11, v7, v6
	v_cmp_gt_i32_e64 s[14:15], v39, v10
	s_waitcnt lgkmcnt(1)
	v_mov_b32_e32 v6, v2
	v_mov_b32_e32 v7, v3
	s_mov_b64 s[18:19], 0
	s_and_saveexec_b64 s[20:21], s[14:15]
	s_cbranch_execz .LBB2_432
; %bb.427:
	v_cmp_gt_i32_e64 s[14:15], v36, v11
	s_waitcnt lgkmcnt(0)
	v_cmp_nlt_f32_e64 s[16:17], v2, v4
	s_and_b64 s[18:19], s[14:15], s[16:17]
	s_mov_b64 s[14:15], -1
	s_and_saveexec_b64 s[16:17], s[18:19]
	s_cbranch_execz .LBB2_431
; %bb.428:
	v_cmp_eq_f32_e64 s[14:15], v2, v4
	s_mov_b64 s[18:19], 0
	s_and_saveexec_b64 s[22:23], s[14:15]
; %bb.429:
	v_cmp_lt_f32_e64 s[14:15], v3, v5
	s_and_b64 s[18:19], s[14:15], exec
; %bb.430:
	s_or_b64 exec, exec, s[22:23]
	s_orn2_b64 s[14:15], s[18:19], exec
.LBB2_431:
	s_or_b64 exec, exec, s[16:17]
	s_and_b64 s[18:19], s[14:15], exec
.LBB2_432:
	s_or_b64 exec, exec, s[20:21]
	s_xor_b64 s[14:15], s[18:19], -1
                                        ; implicit-def: $vgpr8
	s_and_saveexec_b64 s[16:17], s[14:15]
	s_xor_b64 s[14:15], exec, s[16:17]
; %bb.433:
	ds_read_b64 v[8:9], v9 offset:8
                                        ; implicit-def: $vgpr12
; %bb.434:
	s_andn2_saveexec_b64 s[14:15], s[14:15]
	s_cbranch_execz .LBB2_436
; %bb.435:
	ds_read_b64 v[6:7], v12 offset:8
	s_waitcnt lgkmcnt(1)
	v_mov_b32_e32 v9, v5
	v_mov_b32_e32 v8, v4
.LBB2_436:
	s_or_b64 exec, exec, s[14:15]
	v_add_u32_e32 v12, 1, v10
	v_add_u32_e32 v13, 1, v11
	v_cndmask_b32_e64 v14, v10, v12, s[18:19]
	v_cndmask_b32_e64 v15, v13, v11, s[18:19]
	v_cmp_lt_i32_e64 s[14:15], v14, v39
	s_mov_b64 s[20:21], 0
	s_and_saveexec_b64 s[22:23], s[14:15]
	s_cbranch_execz .LBB2_442
; %bb.437:
	v_cmp_lt_i32_e64 s[14:15], v15, v36
	s_waitcnt lgkmcnt(0)
	v_cmp_nlt_f32_e64 s[16:17], v6, v8
	s_and_b64 s[20:21], s[14:15], s[16:17]
	s_mov_b64 s[14:15], -1
	s_and_saveexec_b64 s[16:17], s[20:21]
	s_cbranch_execz .LBB2_441
; %bb.438:
	v_cmp_eq_f32_e64 s[14:15], v6, v8
	s_mov_b64 s[20:21], 0
	s_and_saveexec_b64 s[24:25], s[14:15]
; %bb.439:
	v_cmp_lt_f32_e64 s[14:15], v7, v9
	s_and_b64 s[20:21], s[14:15], exec
; %bb.440:
	s_or_b64 exec, exec, s[24:25]
	s_orn2_b64 s[14:15], s[20:21], exec
.LBB2_441:
	s_or_b64 exec, exec, s[16:17]
	s_and_b64 s[20:21], s[14:15], exec
.LBB2_442:
	s_or_b64 exec, exec, s[22:23]
	s_xor_b64 s[14:15], s[20:21], -1
                                        ; implicit-def: $vgpr10
	s_and_saveexec_b64 s[16:17], s[14:15]
	s_xor_b64 s[14:15], exec, s[16:17]
; %bb.443:
	v_lshl_add_u32 v10, v15, 3, v37
	ds_read_b64 v[10:11], v10 offset:8
; %bb.444:
	s_or_saveexec_b64 s[14:15], s[14:15]
	s_waitcnt lgkmcnt(0)
	v_mov_b32_e32 v12, v6
	v_mov_b32_e32 v13, v7
	s_xor_b64 exec, exec, s[14:15]
; %bb.445:
	v_lshl_add_u32 v10, v14, 3, v37
	ds_read_b64 v[12:13], v10 offset:8
	v_mov_b32_e32 v11, v9
	v_mov_b32_e32 v10, v8
; %bb.446:
	s_or_b64 exec, exec, s[14:15]
	v_add_u32_e32 v16, 1, v14
	v_add_u32_e32 v17, 1, v15
	v_cndmask_b32_e64 v18, v14, v16, s[20:21]
	v_cndmask_b32_e64 v19, v17, v15, s[20:21]
	v_cmp_lt_i32_e64 s[14:15], v18, v39
	s_mov_b64 s[22:23], 0
	s_and_saveexec_b64 s[24:25], s[14:15]
	s_cbranch_execz .LBB2_452
; %bb.447:
	v_cmp_lt_i32_e64 s[14:15], v19, v36
	s_waitcnt lgkmcnt(0)
	v_cmp_nlt_f32_e64 s[16:17], v12, v10
	s_and_b64 s[22:23], s[14:15], s[16:17]
	s_mov_b64 s[14:15], -1
	s_and_saveexec_b64 s[16:17], s[22:23]
	s_cbranch_execz .LBB2_451
; %bb.448:
	v_cmp_eq_f32_e64 s[14:15], v12, v10
	s_mov_b64 s[22:23], 0
	s_and_saveexec_b64 s[26:27], s[14:15]
; %bb.449:
	v_cmp_lt_f32_e64 s[14:15], v13, v11
	s_and_b64 s[22:23], s[14:15], exec
; %bb.450:
	s_or_b64 exec, exec, s[26:27]
	s_orn2_b64 s[14:15], s[22:23], exec
.LBB2_451:
	s_or_b64 exec, exec, s[16:17]
	s_and_b64 s[22:23], s[14:15], exec
.LBB2_452:
	s_or_b64 exec, exec, s[24:25]
	s_xor_b64 s[14:15], s[22:23], -1
                                        ; implicit-def: $vgpr14
	s_and_saveexec_b64 s[16:17], s[14:15]
	s_xor_b64 s[14:15], exec, s[16:17]
; %bb.453:
	v_lshl_add_u32 v14, v19, 3, v37
	ds_read_b64 v[14:15], v14 offset:8
; %bb.454:
	s_or_saveexec_b64 s[14:15], s[14:15]
	s_waitcnt lgkmcnt(0)
	v_mov_b32_e32 v16, v12
	v_mov_b32_e32 v17, v13
	s_xor_b64 exec, exec, s[14:15]
; %bb.455:
	v_lshl_add_u32 v14, v18, 3, v37
	ds_read_b64 v[16:17], v14 offset:8
	v_mov_b32_e32 v15, v11
	v_mov_b32_e32 v14, v10
; %bb.456:
	s_or_b64 exec, exec, s[14:15]
	v_add_u32_e32 v20, 1, v18
	v_add_u32_e32 v21, 1, v19
	v_cndmask_b32_e64 v22, v18, v20, s[22:23]
	v_cndmask_b32_e64 v23, v21, v19, s[22:23]
	v_cmp_lt_i32_e64 s[14:15], v22, v39
	s_mov_b64 s[24:25], 0
	s_and_saveexec_b64 s[26:27], s[14:15]
	s_cbranch_execz .LBB2_462
; %bb.457:
	v_cmp_lt_i32_e64 s[14:15], v23, v36
	s_waitcnt lgkmcnt(0)
	v_cmp_nlt_f32_e64 s[16:17], v16, v14
	s_and_b64 s[24:25], s[14:15], s[16:17]
	s_mov_b64 s[14:15], -1
	s_and_saveexec_b64 s[16:17], s[24:25]
	s_cbranch_execz .LBB2_461
; %bb.458:
	v_cmp_eq_f32_e64 s[14:15], v16, v14
	s_mov_b64 s[24:25], 0
	s_and_saveexec_b64 s[28:29], s[14:15]
; %bb.459:
	v_cmp_lt_f32_e64 s[14:15], v17, v15
	s_and_b64 s[24:25], s[14:15], exec
; %bb.460:
	s_or_b64 exec, exec, s[28:29]
	s_orn2_b64 s[14:15], s[24:25], exec
.LBB2_461:
	s_or_b64 exec, exec, s[16:17]
	s_and_b64 s[24:25], s[14:15], exec
.LBB2_462:
	s_or_b64 exec, exec, s[26:27]
	s_xor_b64 s[14:15], s[24:25], -1
                                        ; implicit-def: $vgpr18
	s_and_saveexec_b64 s[16:17], s[14:15]
	s_xor_b64 s[14:15], exec, s[16:17]
; %bb.463:
	v_lshl_add_u32 v18, v23, 3, v37
	ds_read_b64 v[18:19], v18 offset:8
; %bb.464:
	s_or_saveexec_b64 s[14:15], s[14:15]
	s_waitcnt lgkmcnt(0)
	v_mov_b32_e32 v20, v16
	v_mov_b32_e32 v21, v17
	s_xor_b64 exec, exec, s[14:15]
; %bb.465:
	v_lshl_add_u32 v18, v22, 3, v37
	ds_read_b64 v[20:21], v18 offset:8
	v_mov_b32_e32 v19, v15
	v_mov_b32_e32 v18, v14
; %bb.466:
	s_or_b64 exec, exec, s[14:15]
	v_add_u32_e32 v24, 1, v22
	v_add_u32_e32 v25, 1, v23
	v_cndmask_b32_e64 v26, v22, v24, s[24:25]
	v_cndmask_b32_e64 v27, v25, v23, s[24:25]
	v_cmp_lt_i32_e64 s[14:15], v26, v39
	s_mov_b64 s[26:27], 0
	s_and_saveexec_b64 s[28:29], s[14:15]
	s_cbranch_execz .LBB2_472
; %bb.467:
	v_cmp_lt_i32_e64 s[14:15], v27, v36
	s_waitcnt lgkmcnt(0)
	v_cmp_nlt_f32_e64 s[16:17], v20, v18
	s_and_b64 s[26:27], s[14:15], s[16:17]
	s_mov_b64 s[14:15], -1
	s_and_saveexec_b64 s[16:17], s[26:27]
	s_cbranch_execz .LBB2_471
; %bb.468:
	v_cmp_eq_f32_e64 s[14:15], v20, v18
	s_mov_b64 s[26:27], 0
	s_and_saveexec_b64 s[30:31], s[14:15]
; %bb.469:
	v_cmp_lt_f32_e64 s[14:15], v21, v19
	s_and_b64 s[26:27], s[14:15], exec
; %bb.470:
	s_or_b64 exec, exec, s[30:31]
	s_orn2_b64 s[14:15], s[26:27], exec
.LBB2_471:
	s_or_b64 exec, exec, s[16:17]
	s_and_b64 s[26:27], s[14:15], exec
.LBB2_472:
	s_or_b64 exec, exec, s[28:29]
	s_xor_b64 s[14:15], s[26:27], -1
                                        ; implicit-def: $vgpr22
	s_and_saveexec_b64 s[16:17], s[14:15]
	s_xor_b64 s[14:15], exec, s[16:17]
; %bb.473:
	v_lshl_add_u32 v22, v27, 3, v37
	ds_read_b64 v[22:23], v22 offset:8
; %bb.474:
	s_or_saveexec_b64 s[14:15], s[14:15]
	s_waitcnt lgkmcnt(0)
	v_mov_b32_e32 v24, v20
	v_mov_b32_e32 v25, v21
	s_xor_b64 exec, exec, s[14:15]
; %bb.475:
	v_lshl_add_u32 v22, v26, 3, v37
	ds_read_b64 v[24:25], v22 offset:8
	v_mov_b32_e32 v23, v19
	v_mov_b32_e32 v22, v18
; %bb.476:
	s_or_b64 exec, exec, s[14:15]
	v_add_u32_e32 v28, 1, v26
	v_add_u32_e32 v29, 1, v27
	v_cndmask_b32_e64 v30, v26, v28, s[26:27]
	v_cndmask_b32_e64 v31, v29, v27, s[26:27]
	v_cmp_lt_i32_e64 s[14:15], v30, v39
	s_mov_b64 s[28:29], 0
	s_and_saveexec_b64 s[30:31], s[14:15]
	s_cbranch_execz .LBB2_482
; %bb.477:
	v_cmp_lt_i32_e64 s[14:15], v31, v36
	s_waitcnt lgkmcnt(0)
	v_cmp_nlt_f32_e64 s[16:17], v24, v22
	s_and_b64 s[28:29], s[14:15], s[16:17]
	s_mov_b64 s[14:15], -1
	s_and_saveexec_b64 s[16:17], s[28:29]
	s_cbranch_execz .LBB2_481
; %bb.478:
	v_cmp_eq_f32_e64 s[14:15], v24, v22
	s_mov_b64 s[28:29], 0
	s_and_saveexec_b64 s[34:35], s[14:15]
; %bb.479:
	v_cmp_lt_f32_e64 s[14:15], v25, v23
	s_and_b64 s[28:29], s[14:15], exec
; %bb.480:
	s_or_b64 exec, exec, s[34:35]
	s_orn2_b64 s[14:15], s[28:29], exec
.LBB2_481:
	s_or_b64 exec, exec, s[16:17]
	s_and_b64 s[28:29], s[14:15], exec
.LBB2_482:
	s_or_b64 exec, exec, s[30:31]
	s_xor_b64 s[14:15], s[28:29], -1
                                        ; implicit-def: $vgpr26
	s_and_saveexec_b64 s[16:17], s[14:15]
	s_xor_b64 s[14:15], exec, s[16:17]
; %bb.483:
	v_lshl_add_u32 v26, v31, 3, v37
	ds_read_b64 v[26:27], v26 offset:8
; %bb.484:
	s_or_saveexec_b64 s[14:15], s[14:15]
	s_waitcnt lgkmcnt(0)
	v_mov_b32_e32 v28, v24
	v_mov_b32_e32 v29, v25
	s_xor_b64 exec, exec, s[14:15]
; %bb.485:
	v_lshl_add_u32 v26, v30, 3, v37
	ds_read_b64 v[28:29], v26 offset:8
	v_mov_b32_e32 v27, v23
	v_mov_b32_e32 v26, v22
; %bb.486:
	s_or_b64 exec, exec, s[14:15]
	v_add_u32_e32 v32, 1, v30
	v_add_u32_e32 v33, 1, v31
	v_cndmask_b32_e64 v41, v30, v32, s[28:29]
	v_cndmask_b32_e64 v40, v33, v31, s[28:29]
	v_cmp_lt_i32_e64 s[14:15], v41, v39
	s_mov_b64 s[30:31], 0
	s_and_saveexec_b64 s[34:35], s[14:15]
	s_cbranch_execz .LBB2_492
; %bb.487:
	v_cmp_lt_i32_e64 s[14:15], v40, v36
	s_waitcnt lgkmcnt(0)
	v_cmp_nlt_f32_e64 s[16:17], v28, v26
	s_and_b64 s[30:31], s[14:15], s[16:17]
	s_mov_b64 s[14:15], -1
	s_and_saveexec_b64 s[16:17], s[30:31]
	s_cbranch_execz .LBB2_491
; %bb.488:
	v_cmp_eq_f32_e64 s[14:15], v28, v26
	s_mov_b64 s[30:31], 0
	s_and_saveexec_b64 s[36:37], s[14:15]
; %bb.489:
	v_cmp_lt_f32_e64 s[14:15], v29, v27
	s_and_b64 s[30:31], s[14:15], exec
; %bb.490:
	s_or_b64 exec, exec, s[36:37]
	s_orn2_b64 s[14:15], s[30:31], exec
.LBB2_491:
	s_or_b64 exec, exec, s[16:17]
	s_and_b64 s[30:31], s[14:15], exec
.LBB2_492:
	s_or_b64 exec, exec, s[34:35]
	s_xor_b64 s[14:15], s[30:31], -1
                                        ; implicit-def: $vgpr30
	s_and_saveexec_b64 s[16:17], s[14:15]
	s_xor_b64 s[14:15], exec, s[16:17]
; %bb.493:
	v_lshl_add_u32 v30, v40, 3, v37
	ds_read_b64 v[30:31], v30 offset:8
; %bb.494:
	s_or_saveexec_b64 s[14:15], s[14:15]
	s_waitcnt lgkmcnt(0)
	v_mov_b32_e32 v32, v28
	v_mov_b32_e32 v33, v29
	s_xor_b64 exec, exec, s[14:15]
; %bb.495:
	v_lshl_add_u32 v30, v41, 3, v37
	ds_read_b64 v[32:33], v30 offset:8
	v_mov_b32_e32 v31, v27
	v_mov_b32_e32 v30, v26
; %bb.496:
	s_or_b64 exec, exec, s[14:15]
	v_add_u32_e32 v42, 1, v41
	v_cndmask_b32_e64 v41, v41, v42, s[30:31]
	v_cmp_lt_i32_e64 s[14:15], v41, v39
	s_mov_b64 s[16:17], 0
	s_and_saveexec_b64 s[34:35], s[14:15]
	s_cbranch_execz .LBB2_502
; %bb.497:
	v_add_u32_e32 v39, 1, v40
	v_cndmask_b32_e64 v39, v39, v40, s[30:31]
	v_cmp_lt_i32_e64 s[14:15], v39, v36
	s_waitcnt lgkmcnt(0)
	v_cmp_nlt_f32_e64 s[16:17], v32, v30
	s_and_b64 s[36:37], s[14:15], s[16:17]
	s_mov_b64 s[14:15], -1
	s_and_saveexec_b64 s[16:17], s[36:37]
	s_cbranch_execz .LBB2_501
; %bb.498:
	v_cmp_eq_f32_e64 s[14:15], v32, v30
	s_mov_b64 s[36:37], 0
	s_and_saveexec_b64 s[38:39], s[14:15]
; %bb.499:
	v_cmp_lt_f32_e64 s[14:15], v33, v31
	s_and_b64 s[36:37], s[14:15], exec
; %bb.500:
	s_or_b64 exec, exec, s[38:39]
	s_orn2_b64 s[14:15], s[36:37], exec
.LBB2_501:
	s_or_b64 exec, exec, s[16:17]
	s_and_b64 s[16:17], s[14:15], exec
.LBB2_502:
	s_or_b64 exec, exec, s[34:35]
	v_cndmask_b32_e64 v6, v8, v6, s[20:21]
	v_cndmask_b32_e64 v7, v9, v7, s[20:21]
	;; [unrolled: 1-line block ×14, first 2 shown]
	s_waitcnt lgkmcnt(0)
	v_cndmask_b32_e64 v4, v30, v32, s[16:17]
	v_cndmask_b32_e64 v5, v31, v33, s[16:17]
	; wave barrier
	ds_write2_b64 v38, v[2:3], v[6:7] offset1:1
	ds_write2_b64 v38, v[10:11], v[14:15] offset0:2 offset1:3
	ds_write2_b64 v38, v[18:19], v[22:23] offset0:4 offset1:5
	;; [unrolled: 1-line block ×3, first 2 shown]
	v_min_i32_e32 v2, 0, v34
	v_add_u32_e32 v4, 0x80, v2
	v_min_i32_e32 v3, v34, v35
	v_min_i32_e32 v35, v34, v4
	v_add_u32_e32 v4, 0x80, v35
	v_min_i32_e32 v34, v34, v4
	v_sub_u32_e32 v5, v34, v35
	v_sub_u32_e32 v4, v35, v2
	;; [unrolled: 1-line block ×3, first 2 shown]
	v_cmp_ge_i32_e64 s[14:15], v3, v5
	v_cndmask_b32_e64 v8, 0, v7, s[14:15]
	v_min_i32_e32 v4, v3, v4
	v_lshl_add_u32 v6, v2, 3, v37
	v_cmp_lt_i32_e64 s[14:15], v8, v4
	; wave barrier
	s_and_saveexec_b64 s[16:17], s[14:15]
	s_cbranch_execz .LBB2_510
; %bb.503:
	v_lshlrev_b32_e32 v5, 3, v35
	v_lshlrev_b32_e32 v7, 3, v3
	v_add3_u32 v5, v37, v5, v7
	s_mov_b64 s[18:19], 0
                                        ; implicit-def: $sgpr20_sgpr21
	s_branch .LBB2_506
.LBB2_504:                              ;   in Loop: Header=BB2_506 Depth=1
	s_or_b64 exec, exec, s[26:27]
	s_andn2_b64 s[14:15], s[20:21], exec
	s_and_b64 s[20:21], s[24:25], exec
	s_or_b64 s[20:21], s[14:15], s[20:21]
.LBB2_505:                              ;   in Loop: Header=BB2_506 Depth=1
	s_or_b64 exec, exec, s[22:23]
	v_add_u32_e32 v9, 1, v7
	v_cndmask_b32_e64 v4, v4, v7, s[20:21]
	v_cndmask_b32_e64 v8, v9, v8, s[20:21]
	v_cmp_ge_i32_e64 s[14:15], v8, v4
	s_or_b64 s[18:19], s[14:15], s[18:19]
	s_andn2_b64 exec, exec, s[18:19]
	s_cbranch_execz .LBB2_509
.LBB2_506:                              ; =>This Inner Loop Header: Depth=1
	v_sub_u32_e32 v7, v4, v8
	v_lshrrev_b32_e32 v7, 1, v7
	v_add_u32_e32 v7, v7, v8
	v_lshl_add_u32 v9, v7, 3, v6
	v_not_b32_e32 v10, v7
	v_lshl_add_u32 v10, v10, 3, v5
	ds_read_b32 v11, v9
	ds_read_b32 v12, v10
	s_or_b64 s[20:21], s[20:21], exec
	s_waitcnt lgkmcnt(0)
	v_cmp_nlt_f32_e64 s[14:15], v12, v11
	s_and_saveexec_b64 s[22:23], s[14:15]
	s_cbranch_execz .LBB2_505
; %bb.507:                              ;   in Loop: Header=BB2_506 Depth=1
	v_cmp_eq_f32_e64 s[14:15], v12, v11
	s_mov_b64 s[24:25], 0
	s_and_saveexec_b64 s[26:27], s[14:15]
	s_cbranch_execz .LBB2_504
; %bb.508:                              ;   in Loop: Header=BB2_506 Depth=1
	ds_read_b32 v10, v10 offset:4
	ds_read_b32 v9, v9 offset:4
	s_waitcnt lgkmcnt(0)
	v_cmp_lt_f32_e64 s[14:15], v10, v9
	s_and_b64 s[24:25], s[14:15], exec
	s_branch .LBB2_504
.LBB2_509:
	s_or_b64 exec, exec, s[18:19]
.LBB2_510:
	s_or_b64 exec, exec, s[16:17]
	v_add_u32_e32 v3, v3, v35
	v_sub_u32_e32 v10, v3, v8
	v_lshl_add_u32 v12, v10, 3, v37
	ds_read_b64 v[4:5], v12
	v_lshl_add_u32 v9, v8, 3, v6
	ds_read_b64 v[6:7], v9
	v_add_u32_e32 v11, v8, v2
	v_cmp_gt_i32_e64 s[14:15], v34, v10
	s_waitcnt lgkmcnt(1)
	v_mov_b32_e32 v2, v4
	v_mov_b32_e32 v3, v5
	s_mov_b64 s[18:19], 0
	s_and_saveexec_b64 s[20:21], s[14:15]
	s_cbranch_execz .LBB2_516
; %bb.511:
	v_cmp_gt_i32_e64 s[14:15], v35, v11
	s_waitcnt lgkmcnt(0)
	v_cmp_nlt_f32_e64 s[16:17], v4, v6
	s_and_b64 s[18:19], s[14:15], s[16:17]
	s_mov_b64 s[14:15], -1
	s_and_saveexec_b64 s[16:17], s[18:19]
	s_cbranch_execz .LBB2_515
; %bb.512:
	v_cmp_eq_f32_e64 s[14:15], v4, v6
	s_mov_b64 s[18:19], 0
	s_and_saveexec_b64 s[22:23], s[14:15]
; %bb.513:
	v_cmp_lt_f32_e64 s[14:15], v5, v7
	s_and_b64 s[18:19], s[14:15], exec
; %bb.514:
	s_or_b64 exec, exec, s[22:23]
	s_orn2_b64 s[14:15], s[18:19], exec
.LBB2_515:
	s_or_b64 exec, exec, s[16:17]
	s_and_b64 s[18:19], s[14:15], exec
.LBB2_516:
	s_or_b64 exec, exec, s[20:21]
	s_xor_b64 s[14:15], s[18:19], -1
                                        ; implicit-def: $vgpr8
	s_and_saveexec_b64 s[16:17], s[14:15]
	s_xor_b64 s[14:15], exec, s[16:17]
; %bb.517:
	ds_read_b64 v[8:9], v9 offset:8
                                        ; implicit-def: $vgpr12
; %bb.518:
	s_andn2_saveexec_b64 s[14:15], s[14:15]
	s_cbranch_execz .LBB2_520
; %bb.519:
	ds_read_b64 v[2:3], v12 offset:8
	s_waitcnt lgkmcnt(1)
	v_mov_b32_e32 v9, v7
	v_mov_b32_e32 v8, v6
.LBB2_520:
	s_or_b64 exec, exec, s[14:15]
	v_add_u32_e32 v12, 1, v10
	v_add_u32_e32 v13, 1, v11
	v_cndmask_b32_e64 v14, v10, v12, s[18:19]
	v_cndmask_b32_e64 v15, v13, v11, s[18:19]
	v_cmp_lt_i32_e64 s[14:15], v14, v34
	s_mov_b64 s[20:21], 0
	s_and_saveexec_b64 s[22:23], s[14:15]
	s_cbranch_execz .LBB2_526
; %bb.521:
	v_cmp_lt_i32_e64 s[14:15], v15, v35
	s_waitcnt lgkmcnt(0)
	v_cmp_nlt_f32_e64 s[16:17], v2, v8
	s_and_b64 s[20:21], s[14:15], s[16:17]
	s_mov_b64 s[14:15], -1
	s_and_saveexec_b64 s[16:17], s[20:21]
	s_cbranch_execz .LBB2_525
; %bb.522:
	v_cmp_eq_f32_e64 s[14:15], v2, v8
	s_mov_b64 s[20:21], 0
	s_and_saveexec_b64 s[24:25], s[14:15]
; %bb.523:
	v_cmp_lt_f32_e64 s[14:15], v3, v9
	s_and_b64 s[20:21], s[14:15], exec
; %bb.524:
	s_or_b64 exec, exec, s[24:25]
	s_orn2_b64 s[14:15], s[20:21], exec
.LBB2_525:
	s_or_b64 exec, exec, s[16:17]
	s_and_b64 s[20:21], s[14:15], exec
.LBB2_526:
	s_or_b64 exec, exec, s[22:23]
	s_xor_b64 s[14:15], s[20:21], -1
                                        ; implicit-def: $vgpr10
	s_and_saveexec_b64 s[16:17], s[14:15]
	s_xor_b64 s[14:15], exec, s[16:17]
; %bb.527:
	v_lshl_add_u32 v10, v15, 3, v37
	ds_read_b64 v[10:11], v10 offset:8
; %bb.528:
	s_or_saveexec_b64 s[14:15], s[14:15]
	s_waitcnt lgkmcnt(0)
	v_mov_b32_e32 v12, v2
	v_mov_b32_e32 v13, v3
	s_xor_b64 exec, exec, s[14:15]
; %bb.529:
	v_lshl_add_u32 v10, v14, 3, v37
	ds_read_b64 v[12:13], v10 offset:8
	v_mov_b32_e32 v11, v9
	v_mov_b32_e32 v10, v8
; %bb.530:
	s_or_b64 exec, exec, s[14:15]
	v_add_u32_e32 v16, 1, v14
	v_add_u32_e32 v17, 1, v15
	v_cndmask_b32_e64 v18, v14, v16, s[20:21]
	v_cndmask_b32_e64 v19, v17, v15, s[20:21]
	v_cmp_lt_i32_e64 s[14:15], v18, v34
	s_mov_b64 s[22:23], 0
	s_and_saveexec_b64 s[24:25], s[14:15]
	s_cbranch_execz .LBB2_536
; %bb.531:
	v_cmp_lt_i32_e64 s[14:15], v19, v35
	s_waitcnt lgkmcnt(0)
	v_cmp_nlt_f32_e64 s[16:17], v12, v10
	s_and_b64 s[22:23], s[14:15], s[16:17]
	s_mov_b64 s[14:15], -1
	s_and_saveexec_b64 s[16:17], s[22:23]
	s_cbranch_execz .LBB2_535
; %bb.532:
	v_cmp_eq_f32_e64 s[14:15], v12, v10
	s_mov_b64 s[22:23], 0
	s_and_saveexec_b64 s[26:27], s[14:15]
; %bb.533:
	v_cmp_lt_f32_e64 s[14:15], v13, v11
	s_and_b64 s[22:23], s[14:15], exec
; %bb.534:
	s_or_b64 exec, exec, s[26:27]
	s_orn2_b64 s[14:15], s[22:23], exec
.LBB2_535:
	s_or_b64 exec, exec, s[16:17]
	s_and_b64 s[22:23], s[14:15], exec
.LBB2_536:
	s_or_b64 exec, exec, s[24:25]
	s_xor_b64 s[14:15], s[22:23], -1
                                        ; implicit-def: $vgpr14
	s_and_saveexec_b64 s[16:17], s[14:15]
	s_xor_b64 s[14:15], exec, s[16:17]
; %bb.537:
	v_lshl_add_u32 v14, v19, 3, v37
	ds_read_b64 v[14:15], v14 offset:8
; %bb.538:
	s_or_saveexec_b64 s[14:15], s[14:15]
	s_waitcnt lgkmcnt(0)
	v_mov_b32_e32 v16, v12
	v_mov_b32_e32 v17, v13
	s_xor_b64 exec, exec, s[14:15]
; %bb.539:
	v_lshl_add_u32 v14, v18, 3, v37
	ds_read_b64 v[16:17], v14 offset:8
	v_mov_b32_e32 v15, v11
	v_mov_b32_e32 v14, v10
; %bb.540:
	s_or_b64 exec, exec, s[14:15]
	v_add_u32_e32 v20, 1, v18
	v_add_u32_e32 v21, 1, v19
	v_cndmask_b32_e64 v22, v18, v20, s[22:23]
	v_cndmask_b32_e64 v23, v21, v19, s[22:23]
	v_cmp_lt_i32_e64 s[14:15], v22, v34
	s_mov_b64 s[24:25], 0
	s_and_saveexec_b64 s[26:27], s[14:15]
	s_cbranch_execz .LBB2_546
; %bb.541:
	v_cmp_lt_i32_e64 s[14:15], v23, v35
	s_waitcnt lgkmcnt(0)
	v_cmp_nlt_f32_e64 s[16:17], v16, v14
	s_and_b64 s[24:25], s[14:15], s[16:17]
	s_mov_b64 s[14:15], -1
	s_and_saveexec_b64 s[16:17], s[24:25]
	s_cbranch_execz .LBB2_545
; %bb.542:
	v_cmp_eq_f32_e64 s[14:15], v16, v14
	s_mov_b64 s[24:25], 0
	s_and_saveexec_b64 s[28:29], s[14:15]
; %bb.543:
	v_cmp_lt_f32_e64 s[14:15], v17, v15
	s_and_b64 s[24:25], s[14:15], exec
; %bb.544:
	s_or_b64 exec, exec, s[28:29]
	s_orn2_b64 s[14:15], s[24:25], exec
.LBB2_545:
	s_or_b64 exec, exec, s[16:17]
	s_and_b64 s[24:25], s[14:15], exec
.LBB2_546:
	s_or_b64 exec, exec, s[26:27]
	s_xor_b64 s[14:15], s[24:25], -1
                                        ; implicit-def: $vgpr18
	s_and_saveexec_b64 s[16:17], s[14:15]
	s_xor_b64 s[14:15], exec, s[16:17]
; %bb.547:
	v_lshl_add_u32 v18, v23, 3, v37
	ds_read_b64 v[18:19], v18 offset:8
; %bb.548:
	s_or_saveexec_b64 s[14:15], s[14:15]
	s_waitcnt lgkmcnt(0)
	v_mov_b32_e32 v20, v16
	v_mov_b32_e32 v21, v17
	s_xor_b64 exec, exec, s[14:15]
; %bb.549:
	v_lshl_add_u32 v18, v22, 3, v37
	ds_read_b64 v[20:21], v18 offset:8
	v_mov_b32_e32 v19, v15
	v_mov_b32_e32 v18, v14
; %bb.550:
	s_or_b64 exec, exec, s[14:15]
	v_add_u32_e32 v24, 1, v22
	v_add_u32_e32 v25, 1, v23
	v_cndmask_b32_e64 v26, v22, v24, s[24:25]
	v_cndmask_b32_e64 v27, v25, v23, s[24:25]
	v_cmp_lt_i32_e64 s[14:15], v26, v34
	s_mov_b64 s[26:27], 0
	s_and_saveexec_b64 s[28:29], s[14:15]
	s_cbranch_execz .LBB2_556
; %bb.551:
	v_cmp_lt_i32_e64 s[14:15], v27, v35
	s_waitcnt lgkmcnt(0)
	v_cmp_nlt_f32_e64 s[16:17], v20, v18
	s_and_b64 s[26:27], s[14:15], s[16:17]
	s_mov_b64 s[14:15], -1
	s_and_saveexec_b64 s[16:17], s[26:27]
	s_cbranch_execz .LBB2_555
; %bb.552:
	v_cmp_eq_f32_e64 s[14:15], v20, v18
	s_mov_b64 s[26:27], 0
	s_and_saveexec_b64 s[30:31], s[14:15]
; %bb.553:
	v_cmp_lt_f32_e64 s[14:15], v21, v19
	s_and_b64 s[26:27], s[14:15], exec
; %bb.554:
	s_or_b64 exec, exec, s[30:31]
	s_orn2_b64 s[14:15], s[26:27], exec
.LBB2_555:
	s_or_b64 exec, exec, s[16:17]
	s_and_b64 s[26:27], s[14:15], exec
.LBB2_556:
	s_or_b64 exec, exec, s[28:29]
	s_xor_b64 s[14:15], s[26:27], -1
                                        ; implicit-def: $vgpr22
	s_and_saveexec_b64 s[16:17], s[14:15]
	s_xor_b64 s[14:15], exec, s[16:17]
; %bb.557:
	v_lshl_add_u32 v22, v27, 3, v37
	ds_read_b64 v[22:23], v22 offset:8
; %bb.558:
	s_or_saveexec_b64 s[14:15], s[14:15]
	s_waitcnt lgkmcnt(0)
	v_mov_b32_e32 v24, v20
	v_mov_b32_e32 v25, v21
	s_xor_b64 exec, exec, s[14:15]
; %bb.559:
	v_lshl_add_u32 v22, v26, 3, v37
	ds_read_b64 v[24:25], v22 offset:8
	v_mov_b32_e32 v23, v19
	v_mov_b32_e32 v22, v18
; %bb.560:
	s_or_b64 exec, exec, s[14:15]
	v_add_u32_e32 v28, 1, v26
	v_add_u32_e32 v29, 1, v27
	v_cndmask_b32_e64 v30, v26, v28, s[26:27]
	v_cndmask_b32_e64 v31, v29, v27, s[26:27]
	v_cmp_lt_i32_e64 s[14:15], v30, v34
	s_mov_b64 s[28:29], 0
	s_and_saveexec_b64 s[30:31], s[14:15]
	s_cbranch_execz .LBB2_566
; %bb.561:
	v_cmp_lt_i32_e64 s[14:15], v31, v35
	s_waitcnt lgkmcnt(0)
	v_cmp_nlt_f32_e64 s[16:17], v24, v22
	s_and_b64 s[28:29], s[14:15], s[16:17]
	s_mov_b64 s[14:15], -1
	s_and_saveexec_b64 s[16:17], s[28:29]
	s_cbranch_execz .LBB2_565
; %bb.562:
	v_cmp_eq_f32_e64 s[14:15], v24, v22
	s_mov_b64 s[28:29], 0
	s_and_saveexec_b64 s[34:35], s[14:15]
; %bb.563:
	v_cmp_lt_f32_e64 s[14:15], v25, v23
	s_and_b64 s[28:29], s[14:15], exec
; %bb.564:
	s_or_b64 exec, exec, s[34:35]
	s_orn2_b64 s[14:15], s[28:29], exec
.LBB2_565:
	s_or_b64 exec, exec, s[16:17]
	s_and_b64 s[28:29], s[14:15], exec
.LBB2_566:
	s_or_b64 exec, exec, s[30:31]
	s_xor_b64 s[14:15], s[28:29], -1
                                        ; implicit-def: $vgpr26
	s_and_saveexec_b64 s[16:17], s[14:15]
	s_xor_b64 s[14:15], exec, s[16:17]
; %bb.567:
	v_lshl_add_u32 v26, v31, 3, v37
	ds_read_b64 v[26:27], v26 offset:8
; %bb.568:
	s_or_saveexec_b64 s[14:15], s[14:15]
	s_waitcnt lgkmcnt(0)
	v_mov_b32_e32 v28, v24
	v_mov_b32_e32 v29, v25
	s_xor_b64 exec, exec, s[14:15]
; %bb.569:
	v_lshl_add_u32 v26, v30, 3, v37
	ds_read_b64 v[28:29], v26 offset:8
	v_mov_b32_e32 v27, v23
	v_mov_b32_e32 v26, v22
; %bb.570:
	s_or_b64 exec, exec, s[14:15]
	v_add_u32_e32 v32, 1, v30
	v_add_u32_e32 v33, 1, v31
	v_cndmask_b32_e64 v38, v30, v32, s[28:29]
	v_cndmask_b32_e64 v36, v33, v31, s[28:29]
	v_cmp_lt_i32_e64 s[14:15], v38, v34
	s_mov_b64 s[30:31], 0
	s_and_saveexec_b64 s[34:35], s[14:15]
	s_cbranch_execz .LBB2_576
; %bb.571:
	v_cmp_lt_i32_e64 s[14:15], v36, v35
	s_waitcnt lgkmcnt(0)
	v_cmp_nlt_f32_e64 s[16:17], v28, v26
	s_and_b64 s[30:31], s[14:15], s[16:17]
	s_mov_b64 s[14:15], -1
	s_and_saveexec_b64 s[16:17], s[30:31]
	s_cbranch_execz .LBB2_575
; %bb.572:
	v_cmp_eq_f32_e64 s[14:15], v28, v26
	s_mov_b64 s[30:31], 0
	s_and_saveexec_b64 s[36:37], s[14:15]
; %bb.573:
	v_cmp_lt_f32_e64 s[14:15], v29, v27
	s_and_b64 s[30:31], s[14:15], exec
; %bb.574:
	s_or_b64 exec, exec, s[36:37]
	s_orn2_b64 s[14:15], s[30:31], exec
.LBB2_575:
	s_or_b64 exec, exec, s[16:17]
	s_and_b64 s[30:31], s[14:15], exec
.LBB2_576:
	s_or_b64 exec, exec, s[34:35]
	s_xor_b64 s[14:15], s[30:31], -1
                                        ; implicit-def: $vgpr30
	s_and_saveexec_b64 s[16:17], s[14:15]
	s_xor_b64 s[14:15], exec, s[16:17]
; %bb.577:
	v_lshl_add_u32 v30, v36, 3, v37
	ds_read_b64 v[30:31], v30 offset:8
                                        ; implicit-def: $vgpr37
; %bb.578:
	s_or_saveexec_b64 s[14:15], s[14:15]
	s_waitcnt lgkmcnt(0)
	v_mov_b32_e32 v32, v28
	v_mov_b32_e32 v33, v29
	s_xor_b64 exec, exec, s[14:15]
; %bb.579:
	v_lshl_add_u32 v30, v38, 3, v37
	ds_read_b64 v[32:33], v30 offset:8
	v_mov_b32_e32 v31, v27
	v_mov_b32_e32 v30, v26
; %bb.580:
	s_or_b64 exec, exec, s[14:15]
	v_add_u32_e32 v37, 1, v38
	v_cndmask_b32_e64 v37, v38, v37, s[30:31]
	v_cmp_lt_i32_e64 s[14:15], v37, v34
	s_mov_b64 s[16:17], 0
	s_and_saveexec_b64 s[34:35], s[14:15]
	s_cbranch_execnz .LBB2_590
; %bb.581:
	s_or_b64 exec, exec, s[34:35]
	s_and_saveexec_b64 s[14:15], vcc
	s_cbranch_execnz .LBB2_595
.LBB2_582:
	s_or_b64 exec, exec, s[14:15]
	s_and_saveexec_b64 s[14:15], s[0:1]
	s_cbranch_execnz .LBB2_596
.LBB2_583:
	s_or_b64 exec, exec, s[14:15]
	s_and_saveexec_b64 s[0:1], s[2:3]
	s_cbranch_execnz .LBB2_597
.LBB2_584:
	s_or_b64 exec, exec, s[0:1]
	s_and_saveexec_b64 s[0:1], s[4:5]
	s_cbranch_execnz .LBB2_598
.LBB2_585:
	s_or_b64 exec, exec, s[0:1]
	s_and_saveexec_b64 s[0:1], s[6:7]
	s_cbranch_execnz .LBB2_599
.LBB2_586:
	s_or_b64 exec, exec, s[0:1]
	s_and_saveexec_b64 s[0:1], s[8:9]
	s_cbranch_execnz .LBB2_600
.LBB2_587:
	s_or_b64 exec, exec, s[0:1]
	s_and_saveexec_b64 s[0:1], s[10:11]
	s_cbranch_execnz .LBB2_601
.LBB2_588:
	s_or_b64 exec, exec, s[0:1]
	s_and_saveexec_b64 s[0:1], s[12:13]
	s_cbranch_execnz .LBB2_602
.LBB2_589:
	s_endpgm
.LBB2_590:
	v_add_u32_e32 v34, 1, v36
	v_cndmask_b32_e64 v34, v34, v36, s[30:31]
	v_cmp_lt_i32_e64 s[14:15], v34, v35
	s_waitcnt lgkmcnt(0)
	v_cmp_nlt_f32_e64 s[16:17], v32, v30
	s_and_b64 s[36:37], s[14:15], s[16:17]
	s_mov_b64 s[14:15], -1
	s_and_saveexec_b64 s[16:17], s[36:37]
	s_cbranch_execz .LBB2_594
; %bb.591:
	v_cmp_eq_f32_e64 s[14:15], v32, v30
	s_mov_b64 s[36:37], 0
	s_and_saveexec_b64 s[38:39], s[14:15]
; %bb.592:
	v_cmp_lt_f32_e64 s[14:15], v33, v31
	s_and_b64 s[36:37], s[14:15], exec
; %bb.593:
	s_or_b64 exec, exec, s[38:39]
	s_orn2_b64 s[14:15], s[36:37], exec
.LBB2_594:
	s_or_b64 exec, exec, s[16:17]
	s_and_b64 s[16:17], s[14:15], exec
	s_or_b64 exec, exec, s[34:35]
	s_and_saveexec_b64 s[14:15], vcc
	s_cbranch_execz .LBB2_582
.LBB2_595:
	v_cndmask_b32_e64 v4, v6, v4, s[18:19]
	v_cndmask_b32_e64 v5, v7, v5, s[18:19]
	global_store_dwordx2 v[0:1], v[4:5], off
	s_or_b64 exec, exec, s[14:15]
	s_and_saveexec_b64 s[14:15], s[0:1]
	s_cbranch_execz .LBB2_583
.LBB2_596:
	v_cndmask_b32_e64 v2, v8, v2, s[20:21]
	v_cndmask_b32_e64 v3, v9, v3, s[20:21]
	global_store_dwordx2 v[0:1], v[2:3], off offset:8
	s_or_b64 exec, exec, s[14:15]
	s_and_saveexec_b64 s[0:1], s[2:3]
	s_cbranch_execz .LBB2_584
.LBB2_597:
	v_cndmask_b32_e64 v2, v10, v12, s[22:23]
	v_cndmask_b32_e64 v3, v11, v13, s[22:23]
	global_store_dwordx2 v[0:1], v[2:3], off offset:16
	s_or_b64 exec, exec, s[0:1]
	s_and_saveexec_b64 s[0:1], s[4:5]
	s_cbranch_execz .LBB2_585
.LBB2_598:
	v_cndmask_b32_e64 v2, v14, v16, s[24:25]
	v_cndmask_b32_e64 v3, v15, v17, s[24:25]
	global_store_dwordx2 v[0:1], v[2:3], off offset:24
	s_or_b64 exec, exec, s[0:1]
	s_and_saveexec_b64 s[0:1], s[6:7]
	s_cbranch_execz .LBB2_586
.LBB2_599:
	v_cndmask_b32_e64 v2, v18, v20, s[26:27]
	v_cndmask_b32_e64 v3, v19, v21, s[26:27]
	global_store_dwordx2 v[0:1], v[2:3], off offset:32
	s_or_b64 exec, exec, s[0:1]
	s_and_saveexec_b64 s[0:1], s[8:9]
	s_cbranch_execz .LBB2_587
.LBB2_600:
	v_cndmask_b32_e64 v2, v22, v24, s[28:29]
	v_cndmask_b32_e64 v3, v23, v25, s[28:29]
	global_store_dwordx2 v[0:1], v[2:3], off offset:40
	s_or_b64 exec, exec, s[0:1]
	s_and_saveexec_b64 s[0:1], s[10:11]
	s_cbranch_execz .LBB2_588
.LBB2_601:
	v_cndmask_b32_e64 v2, v26, v28, s[30:31]
	v_cndmask_b32_e64 v3, v27, v29, s[30:31]
	global_store_dwordx2 v[0:1], v[2:3], off offset:48
	s_or_b64 exec, exec, s[0:1]
	s_and_saveexec_b64 s[0:1], s[12:13]
	s_cbranch_execz .LBB2_589
.LBB2_602:
	s_waitcnt lgkmcnt(0)
	v_cndmask_b32_e64 v2, v30, v32, s[16:17]
	v_cndmask_b32_e64 v3, v31, v33, s[16:17]
	global_store_dwordx2 v[0:1], v[2:3], off offset:56
	s_endpgm
	.section	.rodata,"a",@progbits
	.p2align	6, 0x0
	.amdhsa_kernel _Z19sort_keys_segmentedILj256ELj32ELj8ELb0EN10test_utils16custom_test_typeIfEENS0_4lessEEvPT3_PKjT4_
		.amdhsa_group_segment_fixed_size 16448
		.amdhsa_private_segment_fixed_size 0
		.amdhsa_kernarg_size 20
		.amdhsa_user_sgpr_count 6
		.amdhsa_user_sgpr_private_segment_buffer 1
		.amdhsa_user_sgpr_dispatch_ptr 0
		.amdhsa_user_sgpr_queue_ptr 0
		.amdhsa_user_sgpr_kernarg_segment_ptr 1
		.amdhsa_user_sgpr_dispatch_id 0
		.amdhsa_user_sgpr_flat_scratch_init 0
		.amdhsa_user_sgpr_private_segment_size 0
		.amdhsa_uses_dynamic_stack 0
		.amdhsa_system_sgpr_private_segment_wavefront_offset 0
		.amdhsa_system_sgpr_workgroup_id_x 1
		.amdhsa_system_sgpr_workgroup_id_y 0
		.amdhsa_system_sgpr_workgroup_id_z 0
		.amdhsa_system_sgpr_workgroup_info 0
		.amdhsa_system_vgpr_workitem_id 0
		.amdhsa_next_free_vgpr 65
		.amdhsa_next_free_sgpr 98
		.amdhsa_reserve_vcc 1
		.amdhsa_reserve_flat_scratch 0
		.amdhsa_float_round_mode_32 0
		.amdhsa_float_round_mode_16_64 0
		.amdhsa_float_denorm_mode_32 3
		.amdhsa_float_denorm_mode_16_64 3
		.amdhsa_dx10_clamp 1
		.amdhsa_ieee_mode 1
		.amdhsa_fp16_overflow 0
		.amdhsa_exception_fp_ieee_invalid_op 0
		.amdhsa_exception_fp_denorm_src 0
		.amdhsa_exception_fp_ieee_div_zero 0
		.amdhsa_exception_fp_ieee_overflow 0
		.amdhsa_exception_fp_ieee_underflow 0
		.amdhsa_exception_fp_ieee_inexact 0
		.amdhsa_exception_int_div_zero 0
	.end_amdhsa_kernel
	.section	.text._Z19sort_keys_segmentedILj256ELj32ELj8ELb0EN10test_utils16custom_test_typeIfEENS0_4lessEEvPT3_PKjT4_,"axG",@progbits,_Z19sort_keys_segmentedILj256ELj32ELj8ELb0EN10test_utils16custom_test_typeIfEENS0_4lessEEvPT3_PKjT4_,comdat
.Lfunc_end2:
	.size	_Z19sort_keys_segmentedILj256ELj32ELj8ELb0EN10test_utils16custom_test_typeIfEENS0_4lessEEvPT3_PKjT4_, .Lfunc_end2-_Z19sort_keys_segmentedILj256ELj32ELj8ELb0EN10test_utils16custom_test_typeIfEENS0_4lessEEvPT3_PKjT4_
                                        ; -- End function
	.set _Z19sort_keys_segmentedILj256ELj32ELj8ELb0EN10test_utils16custom_test_typeIfEENS0_4lessEEvPT3_PKjT4_.num_vgpr, 44
	.set _Z19sort_keys_segmentedILj256ELj32ELj8ELb0EN10test_utils16custom_test_typeIfEENS0_4lessEEvPT3_PKjT4_.num_agpr, 0
	.set _Z19sort_keys_segmentedILj256ELj32ELj8ELb0EN10test_utils16custom_test_typeIfEENS0_4lessEEvPT3_PKjT4_.numbered_sgpr, 40
	.set _Z19sort_keys_segmentedILj256ELj32ELj8ELb0EN10test_utils16custom_test_typeIfEENS0_4lessEEvPT3_PKjT4_.num_named_barrier, 0
	.set _Z19sort_keys_segmentedILj256ELj32ELj8ELb0EN10test_utils16custom_test_typeIfEENS0_4lessEEvPT3_PKjT4_.private_seg_size, 0
	.set _Z19sort_keys_segmentedILj256ELj32ELj8ELb0EN10test_utils16custom_test_typeIfEENS0_4lessEEvPT3_PKjT4_.uses_vcc, 1
	.set _Z19sort_keys_segmentedILj256ELj32ELj8ELb0EN10test_utils16custom_test_typeIfEENS0_4lessEEvPT3_PKjT4_.uses_flat_scratch, 0
	.set _Z19sort_keys_segmentedILj256ELj32ELj8ELb0EN10test_utils16custom_test_typeIfEENS0_4lessEEvPT3_PKjT4_.has_dyn_sized_stack, 0
	.set _Z19sort_keys_segmentedILj256ELj32ELj8ELb0EN10test_utils16custom_test_typeIfEENS0_4lessEEvPT3_PKjT4_.has_recursion, 0
	.set _Z19sort_keys_segmentedILj256ELj32ELj8ELb0EN10test_utils16custom_test_typeIfEENS0_4lessEEvPT3_PKjT4_.has_indirect_call, 0
	.section	.AMDGPU.csdata,"",@progbits
; Kernel info:
; codeLenInByte = 14152
; TotalNumSgprs: 44
; NumVgprs: 44
; ScratchSize: 0
; MemoryBound: 0
; FloatMode: 240
; IeeeMode: 1
; LDSByteSize: 16448 bytes/workgroup (compile time only)
; SGPRBlocks: 12
; VGPRBlocks: 16
; NumSGPRsForWavesPerEU: 102
; NumVGPRsForWavesPerEU: 65
; Occupancy: 3
; WaveLimiterHint : 0
; COMPUTE_PGM_RSRC2:SCRATCH_EN: 0
; COMPUTE_PGM_RSRC2:USER_SGPR: 6
; COMPUTE_PGM_RSRC2:TRAP_HANDLER: 0
; COMPUTE_PGM_RSRC2:TGID_X_EN: 1
; COMPUTE_PGM_RSRC2:TGID_Y_EN: 0
; COMPUTE_PGM_RSRC2:TGID_Z_EN: 0
; COMPUTE_PGM_RSRC2:TIDIG_COMP_CNT: 0
	.section	.text._Z19sort_keys_segmentedILj256ELj32ELj4ELb0EN10test_utils16custom_test_typeIfEENS0_4lessEEvPT3_PKjT4_,"axG",@progbits,_Z19sort_keys_segmentedILj256ELj32ELj4ELb0EN10test_utils16custom_test_typeIfEENS0_4lessEEvPT3_PKjT4_,comdat
	.protected	_Z19sort_keys_segmentedILj256ELj32ELj4ELb0EN10test_utils16custom_test_typeIfEENS0_4lessEEvPT3_PKjT4_ ; -- Begin function _Z19sort_keys_segmentedILj256ELj32ELj4ELb0EN10test_utils16custom_test_typeIfEENS0_4lessEEvPT3_PKjT4_
	.globl	_Z19sort_keys_segmentedILj256ELj32ELj4ELb0EN10test_utils16custom_test_typeIfEENS0_4lessEEvPT3_PKjT4_
	.p2align	8
	.type	_Z19sort_keys_segmentedILj256ELj32ELj4ELb0EN10test_utils16custom_test_typeIfEENS0_4lessEEvPT3_PKjT4_,@function
_Z19sort_keys_segmentedILj256ELj32ELj4ELb0EN10test_utils16custom_test_typeIfEENS0_4lessEEvPT3_PKjT4_: ; @_Z19sort_keys_segmentedILj256ELj32ELj4ELb0EN10test_utils16custom_test_typeIfEENS0_4lessEEvPT3_PKjT4_
; %bb.0:
	s_load_dwordx4 s[0:3], s[4:5], 0x0
	v_lshrrev_b32_e32 v14, 5, v0
	v_lshl_or_b32 v4, s6, 3, v14
	v_mov_b32_e32 v5, 0
	v_lshlrev_b64 v[0:1], 2, v[4:5]
	s_waitcnt lgkmcnt(0)
	v_mov_b32_e32 v2, s3
	v_add_co_u32_e32 v0, vcc, s2, v0
	v_addc_co_u32_e32 v1, vcc, v2, v1, vcc
	global_load_dword v18, v[0:1], off
	v_mbcnt_lo_u32_b32 v0, -1, 0
	v_mbcnt_hi_u32_b32 v0, -1, v0
	v_lshlrev_b32_e32 v4, 7, v4
	v_lshlrev_b32_e32 v21, 2, v0
	v_lshlrev_b64 v[0:1], 3, v[4:5]
	v_and_b32_e32 v19, 0x7c, v21
	v_mov_b32_e32 v2, s1
	v_add_co_u32_e32 v0, vcc, s0, v0
	v_lshlrev_b32_e32 v15, 3, v19
	v_addc_co_u32_e32 v1, vcc, v2, v1, vcc
	v_add_co_u32_e32 v0, vcc, v0, v15
	v_addc_co_u32_e32 v1, vcc, 0, v1, vcc
	v_mov_b32_e32 v3, 0
	v_mov_b32_e32 v2, 0
	s_waitcnt vmcnt(0)
	v_cmp_lt_u32_e32 vcc, v19, v18
	s_and_saveexec_b64 s[0:1], vcc
	s_cbranch_execz .LBB3_2
; %bb.1:
	global_load_dwordx2 v[2:3], v[0:1], off
.LBB3_2:
	s_or_b64 exec, exec, s[0:1]
	v_or_b32_e32 v7, 1, v19
	v_cmp_lt_u32_e64 s[0:1], v7, v18
	v_mov_b32_e32 v4, 0
	s_and_saveexec_b64 s[2:3], s[0:1]
	s_cbranch_execz .LBB3_4
; %bb.3:
	global_load_dwordx2 v[4:5], v[0:1], off offset:8
.LBB3_4:
	s_or_b64 exec, exec, s[2:3]
	v_or_b32_e32 v6, 2, v19
	v_cmp_lt_u32_e64 s[2:3], v6, v18
	v_mov_b32_e32 v11, 0
	v_mov_b32_e32 v13, 0
	;; [unrolled: 1-line block ×3, first 2 shown]
	s_and_saveexec_b64 s[4:5], s[2:3]
	s_cbranch_execz .LBB3_6
; %bb.5:
	global_load_dwordx2 v[12:13], v[0:1], off offset:16
.LBB3_6:
	s_or_b64 exec, exec, s[4:5]
	v_or_b32_e32 v16, 3, v19
	v_cmp_lt_u32_e64 s[4:5], v16, v18
	v_mov_b32_e32 v10, 0
	s_and_saveexec_b64 s[6:7], s[4:5]
	s_cbranch_execz .LBB3_8
; %bb.7:
	global_load_dwordx2 v[10:11], v[0:1], off offset:24
.LBB3_8:
	s_or_b64 exec, exec, s[6:7]
	s_getpc_b64 s[6:7]
	s_add_u32 s6, s6, _ZN9sort_lastIN10test_utils4lessENS0_16custom_test_typeIfEEE5valueE@rel32@lo+4
	s_addc_u32 s7, s7, _ZN9sort_lastIN10test_utils4lessENS0_16custom_test_typeIfEEE5valueE@rel32@hi+12
	s_load_dwordx2 s[8:9], s[6:7], 0x0
	v_cmp_lt_i32_e64 s[6:7], v7, v18
	s_waitcnt lgkmcnt(0)
	v_mov_b32_e32 v17, s8
	v_mov_b32_e32 v20, s9
	;; [unrolled: 1-line block ×4, first 2 shown]
	s_and_saveexec_b64 s[10:11], s[6:7]
	s_cbranch_execz .LBB3_14
; %bb.9:
	s_waitcnt vmcnt(0)
	v_cmp_nlt_f32_e64 s[6:7], s8, v4
	s_mov_b64 s[14:15], -1
	s_and_saveexec_b64 s[12:13], s[6:7]
	s_cbranch_execz .LBB3_13
; %bb.10:
	v_cmp_eq_f32_e64 s[6:7], s8, v4
	s_mov_b64 s[14:15], 0
	s_and_saveexec_b64 s[16:17], s[6:7]
; %bb.11:
	v_cmp_lt_f32_e64 s[6:7], s9, v5
	s_and_b64 s[14:15], s[6:7], exec
; %bb.12:
	s_or_b64 exec, exec, s[16:17]
	s_orn2_b64 s[14:15], s[14:15], exec
.LBB3_13:
	s_or_b64 exec, exec, s[12:13]
	v_mov_b32_e32 v7, s8
	v_cndmask_b32_e64 v17, v7, v4, s[14:15]
	v_mov_b32_e32 v7, s9
	v_cndmask_b32_e64 v20, v7, v5, s[14:15]
	v_mov_b32_e32 v8, v4
	v_mov_b32_e32 v9, v5
.LBB3_14:
	s_or_b64 exec, exec, s[10:11]
	v_cmp_lt_i32_e64 s[6:7], v6, v18
	v_mov_b32_e32 v6, v17
	v_mov_b32_e32 v7, v20
	s_and_saveexec_b64 s[8:9], s[6:7]
	s_cbranch_execz .LBB3_20
; %bb.15:
	s_waitcnt vmcnt(0)
	v_cmp_nlt_f32_e64 s[6:7], v17, v12
	s_mov_b64 s[12:13], -1
	s_and_saveexec_b64 s[10:11], s[6:7]
	s_cbranch_execz .LBB3_19
; %bb.16:
	v_cmp_eq_f32_e64 s[6:7], v17, v12
	s_mov_b64 s[12:13], 0
	s_and_saveexec_b64 s[14:15], s[6:7]
; %bb.17:
	v_cmp_lt_f32_e64 s[6:7], v20, v13
	s_and_b64 s[12:13], s[6:7], exec
; %bb.18:
	s_or_b64 exec, exec, s[14:15]
	s_orn2_b64 s[12:13], s[12:13], exec
.LBB3_19:
	s_or_b64 exec, exec, s[10:11]
	v_cndmask_b32_e64 v17, v17, v12, s[12:13]
	v_cndmask_b32_e64 v20, v20, v13, s[12:13]
	v_mov_b32_e32 v6, v12
	v_mov_b32_e32 v7, v13
.LBB3_20:
	s_or_b64 exec, exec, s[8:9]
	v_cmp_lt_i32_e64 s[6:7], v16, v18
	s_waitcnt vmcnt(0)
	v_cndmask_b32_e64 v5, v20, v11, s[6:7]
	v_cndmask_b32_e64 v4, v17, v10, s[6:7]
	v_cmp_lt_i32_e64 s[6:7], v19, v18
	s_and_saveexec_b64 s[10:11], s[6:7]
	s_cbranch_execz .LBB3_46
; %bb.21:
	v_cmp_lt_f32_e64 s[12:13], v8, v2
	v_cmp_nlt_f32_e64 s[6:7], v8, v2
	s_and_saveexec_b64 s[14:15], s[6:7]
; %bb.22:
	v_cmp_eq_f32_e64 s[6:7], v8, v2
	v_cmp_lt_f32_e64 s[8:9], v9, v3
	s_and_b64 s[6:7], s[6:7], s[8:9]
	s_andn2_b64 s[8:9], s[12:13], exec
	s_and_b64 s[6:7], s[6:7], exec
	s_or_b64 s[12:13], s[8:9], s[6:7]
; %bb.23:
	s_or_b64 exec, exec, s[14:15]
	v_mov_b32_e32 v10, v9
	v_mov_b32_e32 v11, v8
	s_and_saveexec_b64 s[6:7], s[12:13]
; %bb.24:
	v_mov_b32_e32 v10, v3
	v_mov_b32_e32 v11, v2
	;; [unrolled: 1-line block ×4, first 2 shown]
; %bb.25:
	s_or_b64 exec, exec, s[6:7]
	v_cmp_lt_f32_e64 s[12:13], v4, v6
	v_cmp_nlt_f32_e64 s[6:7], v4, v6
	s_and_saveexec_b64 s[14:15], s[6:7]
; %bb.26:
	v_cmp_eq_f32_e64 s[6:7], v4, v6
	v_cmp_lt_f32_e64 s[8:9], v5, v7
	s_and_b64 s[6:7], s[6:7], s[8:9]
	s_andn2_b64 s[8:9], s[12:13], exec
	s_and_b64 s[6:7], s[6:7], exec
	s_or_b64 s[12:13], s[8:9], s[6:7]
; %bb.27:
	s_or_b64 exec, exec, s[14:15]
	v_mov_b32_e32 v8, v5
	v_mov_b32_e32 v9, v4
	s_and_saveexec_b64 s[6:7], s[12:13]
; %bb.28:
	v_mov_b32_e32 v8, v7
	v_mov_b32_e32 v9, v6
	;; [unrolled: 1-line block ×4, first 2 shown]
; %bb.29:
	s_or_b64 exec, exec, s[6:7]
	v_cmp_nlt_f32_e64 s[6:7], v6, v11
	s_mov_b64 s[8:9], -1
	s_and_saveexec_b64 s[12:13], s[6:7]
	s_xor_b64 s[12:13], exec, s[12:13]
; %bb.30:
	v_cmp_eq_f32_e64 s[6:7], v6, v11
	v_cmp_lt_f32_e64 s[8:9], v7, v10
	s_and_b64 s[6:7], s[6:7], s[8:9]
	s_orn2_b64 s[8:9], s[6:7], exec
; %bb.31:
	s_or_b64 exec, exec, s[12:13]
	v_mov_b32_e32 v12, v7
	v_mov_b32_e32 v13, v6
	s_and_saveexec_b64 s[6:7], s[8:9]
; %bb.32:
	v_mov_b32_e32 v12, v10
	v_mov_b32_e32 v13, v11
	v_mov_b32_e32 v10, v7
	v_mov_b32_e32 v11, v6
; %bb.33:
	s_or_b64 exec, exec, s[6:7]
	v_cmp_lt_f32_e64 s[12:13], v11, v2
	v_cmp_nlt_f32_e64 s[6:7], v11, v2
	s_and_saveexec_b64 s[14:15], s[6:7]
; %bb.34:
	v_cmp_eq_f32_e64 s[6:7], v11, v2
	v_cmp_lt_f32_e64 s[8:9], v10, v3
	s_and_b64 s[6:7], s[6:7], s[8:9]
	s_andn2_b64 s[8:9], s[12:13], exec
	s_and_b64 s[6:7], s[6:7], exec
	s_or_b64 s[12:13], s[8:9], s[6:7]
; %bb.35:
	s_or_b64 exec, exec, s[14:15]
	v_mov_b32_e32 v6, v3
	v_mov_b32_e32 v7, v2
	s_and_saveexec_b64 s[6:7], s[12:13]
; %bb.36:
	v_mov_b32_e32 v6, v10
	v_mov_b32_e32 v7, v11
	v_mov_b32_e32 v10, v3
	v_mov_b32_e32 v11, v2
; %bb.37:
	s_or_b64 exec, exec, s[6:7]
	v_cmp_lt_f32_e64 s[12:13], v9, v13
	v_cmp_nlt_f32_e64 s[6:7], v9, v13
	s_and_saveexec_b64 s[14:15], s[6:7]
; %bb.38:
	v_cmp_eq_f32_e64 s[6:7], v9, v13
	v_cmp_lt_f32_e64 s[8:9], v8, v12
	s_and_b64 s[6:7], s[6:7], s[8:9]
	s_andn2_b64 s[8:9], s[12:13], exec
	s_and_b64 s[6:7], s[6:7], exec
	s_or_b64 s[12:13], s[8:9], s[6:7]
	;; [unrolled: 22-line block ×3, first 2 shown]
; %bb.43:
	s_or_b64 exec, exec, s[14:15]
	v_mov_b32_e32 v8, v11
	v_mov_b32_e32 v9, v10
	s_and_saveexec_b64 s[6:7], s[12:13]
; %bb.44:
	v_mov_b32_e32 v8, v13
	v_mov_b32_e32 v9, v12
	;; [unrolled: 1-line block ×4, first 2 shown]
; %bb.45:
	s_or_b64 exec, exec, s[6:7]
	v_mov_b32_e32 v2, v7
	v_mov_b32_e32 v3, v6
	v_mov_b32_e32 v6, v13
	v_mov_b32_e32 v7, v12
.LBB3_46:
	s_or_b64 exec, exec, s[10:11]
	s_movk_i32 s6, 0x408
	v_mad_u32_u24 v22, v14, s6, v15
	; wave barrier
	ds_write2_b64 v22, v[2:3], v[8:9] offset1:1
	ds_write2_b64 v22, v[6:7], v[4:5] offset0:2 offset1:3
	v_and_b32_e32 v3, 0x78, v21
	v_min_i32_e32 v6, v18, v3
	v_add_u32_e32 v3, 4, v6
	v_min_i32_e32 v23, v18, v3
	v_add_u32_e32 v3, 4, v23
	v_and_b32_e32 v2, 4, v21
	v_min_i32_e32 v24, v18, v3
	v_min_i32_e32 v2, v18, v2
	v_sub_u32_e32 v5, v24, v23
	v_lshlrev_b32_e32 v4, 3, v6
	v_sub_u32_e32 v3, v23, v6
	v_mad_u32_u24 v4, v14, s6, v4
	v_sub_u32_e32 v7, v2, v5
	v_cmp_ge_i32_e64 s[6:7], v2, v5
	v_cndmask_b32_e64 v7, 0, v7, s[6:7]
	v_min_i32_e32 v3, v2, v3
	v_mul_u32_u24_e32 v20, 0x408, v14
	v_cmp_lt_i32_e64 s[6:7], v7, v3
	; wave barrier
	s_and_saveexec_b64 s[8:9], s[6:7]
	s_cbranch_execz .LBB3_54
; %bb.47:
	v_lshlrev_b32_e32 v5, 3, v23
	v_lshlrev_b32_e32 v8, 3, v2
	v_add3_u32 v5, v20, v5, v8
	s_mov_b64 s[10:11], 0
                                        ; implicit-def: $sgpr12_sgpr13
	s_branch .LBB3_50
.LBB3_48:                               ;   in Loop: Header=BB3_50 Depth=1
	s_or_b64 exec, exec, s[18:19]
	s_andn2_b64 s[6:7], s[12:13], exec
	s_and_b64 s[12:13], s[16:17], exec
	s_or_b64 s[12:13], s[6:7], s[12:13]
.LBB3_49:                               ;   in Loop: Header=BB3_50 Depth=1
	s_or_b64 exec, exec, s[14:15]
	v_add_u32_e32 v9, 1, v8
	v_cndmask_b32_e64 v3, v3, v8, s[12:13]
	v_cndmask_b32_e64 v7, v9, v7, s[12:13]
	v_cmp_ge_i32_e64 s[6:7], v7, v3
	s_or_b64 s[10:11], s[6:7], s[10:11]
	s_andn2_b64 exec, exec, s[10:11]
	s_cbranch_execz .LBB3_53
.LBB3_50:                               ; =>This Inner Loop Header: Depth=1
	v_sub_u32_e32 v8, v3, v7
	v_lshrrev_b32_e32 v8, 1, v8
	v_add_u32_e32 v8, v8, v7
	v_lshl_add_u32 v9, v8, 3, v4
	v_not_b32_e32 v10, v8
	v_lshl_add_u32 v10, v10, 3, v5
	ds_read_b32 v11, v9
	ds_read_b32 v12, v10
	s_or_b64 s[12:13], s[12:13], exec
	s_waitcnt lgkmcnt(0)
	v_cmp_nlt_f32_e64 s[6:7], v12, v11
	s_and_saveexec_b64 s[14:15], s[6:7]
	s_cbranch_execz .LBB3_49
; %bb.51:                               ;   in Loop: Header=BB3_50 Depth=1
	v_cmp_eq_f32_e64 s[6:7], v12, v11
	s_mov_b64 s[16:17], 0
	s_and_saveexec_b64 s[18:19], s[6:7]
	s_cbranch_execz .LBB3_48
; %bb.52:                               ;   in Loop: Header=BB3_50 Depth=1
	ds_read_b32 v10, v10 offset:4
	ds_read_b32 v9, v9 offset:4
	s_waitcnt lgkmcnt(0)
	v_cmp_lt_f32_e64 s[6:7], v10, v9
	s_and_b64 s[16:17], s[6:7], exec
	s_branch .LBB3_48
.LBB3_53:
	s_or_b64 exec, exec, s[10:11]
.LBB3_54:
	s_or_b64 exec, exec, s[8:9]
	v_add_u32_e32 v2, v23, v2
	v_sub_u32_e32 v10, v2, v7
	v_lshl_add_u32 v12, v10, 3, v20
	ds_read_b64 v[2:3], v12
	v_lshl_add_u32 v9, v7, 3, v4
	ds_read_b64 v[4:5], v9
	v_add_u32_e32 v11, v7, v6
	v_cmp_gt_i32_e64 s[6:7], v24, v10
	s_waitcnt lgkmcnt(1)
	v_mov_b32_e32 v6, v2
	v_mov_b32_e32 v7, v3
	s_mov_b64 s[10:11], 0
	s_and_saveexec_b64 s[12:13], s[6:7]
	s_cbranch_execz .LBB3_60
; %bb.55:
	v_cmp_gt_i32_e64 s[6:7], v23, v11
	s_waitcnt lgkmcnt(0)
	v_cmp_nlt_f32_e64 s[8:9], v2, v4
	s_and_b64 s[10:11], s[6:7], s[8:9]
	s_mov_b64 s[6:7], -1
	s_and_saveexec_b64 s[8:9], s[10:11]
	s_cbranch_execz .LBB3_59
; %bb.56:
	v_cmp_eq_f32_e64 s[6:7], v2, v4
	s_mov_b64 s[10:11], 0
	s_and_saveexec_b64 s[14:15], s[6:7]
; %bb.57:
	v_cmp_lt_f32_e64 s[6:7], v3, v5
	s_and_b64 s[10:11], s[6:7], exec
; %bb.58:
	s_or_b64 exec, exec, s[14:15]
	s_orn2_b64 s[6:7], s[10:11], exec
.LBB3_59:
	s_or_b64 exec, exec, s[8:9]
	s_and_b64 s[10:11], s[6:7], exec
.LBB3_60:
	s_or_b64 exec, exec, s[12:13]
	s_xor_b64 s[6:7], s[10:11], -1
                                        ; implicit-def: $vgpr8
	s_and_saveexec_b64 s[8:9], s[6:7]
	s_xor_b64 s[6:7], exec, s[8:9]
; %bb.61:
	ds_read_b64 v[8:9], v9 offset:8
                                        ; implicit-def: $vgpr12
; %bb.62:
	s_andn2_saveexec_b64 s[6:7], s[6:7]
	s_cbranch_execz .LBB3_64
; %bb.63:
	ds_read_b64 v[6:7], v12 offset:8
	s_waitcnt lgkmcnt(1)
	v_mov_b32_e32 v9, v5
	v_mov_b32_e32 v8, v4
.LBB3_64:
	s_or_b64 exec, exec, s[6:7]
	v_add_u32_e32 v12, 1, v10
	v_add_u32_e32 v13, 1, v11
	v_cndmask_b32_e64 v14, v10, v12, s[10:11]
	v_cndmask_b32_e64 v15, v13, v11, s[10:11]
	v_cmp_lt_i32_e64 s[6:7], v14, v24
	s_mov_b64 s[12:13], 0
	s_and_saveexec_b64 s[14:15], s[6:7]
	s_cbranch_execz .LBB3_70
; %bb.65:
	v_cmp_lt_i32_e64 s[6:7], v15, v23
	s_waitcnt lgkmcnt(0)
	v_cmp_nlt_f32_e64 s[8:9], v6, v8
	s_and_b64 s[12:13], s[6:7], s[8:9]
	s_mov_b64 s[6:7], -1
	s_and_saveexec_b64 s[8:9], s[12:13]
	s_cbranch_execz .LBB3_69
; %bb.66:
	v_cmp_eq_f32_e64 s[6:7], v6, v8
	s_mov_b64 s[12:13], 0
	s_and_saveexec_b64 s[16:17], s[6:7]
; %bb.67:
	v_cmp_lt_f32_e64 s[6:7], v7, v9
	s_and_b64 s[12:13], s[6:7], exec
; %bb.68:
	s_or_b64 exec, exec, s[16:17]
	s_orn2_b64 s[6:7], s[12:13], exec
.LBB3_69:
	s_or_b64 exec, exec, s[8:9]
	s_and_b64 s[12:13], s[6:7], exec
.LBB3_70:
	s_or_b64 exec, exec, s[14:15]
	s_xor_b64 s[6:7], s[12:13], -1
                                        ; implicit-def: $vgpr10
	s_and_saveexec_b64 s[8:9], s[6:7]
	s_xor_b64 s[6:7], exec, s[8:9]
; %bb.71:
	v_lshl_add_u32 v10, v15, 3, v20
	ds_read_b64 v[10:11], v10 offset:8
; %bb.72:
	s_or_saveexec_b64 s[6:7], s[6:7]
	s_waitcnt lgkmcnt(0)
	v_mov_b32_e32 v12, v6
	v_mov_b32_e32 v13, v7
	s_xor_b64 exec, exec, s[6:7]
; %bb.73:
	v_lshl_add_u32 v10, v14, 3, v20
	ds_read_b64 v[12:13], v10 offset:8
	v_mov_b32_e32 v11, v9
	v_mov_b32_e32 v10, v8
; %bb.74:
	s_or_b64 exec, exec, s[6:7]
	v_add_u32_e32 v16, 1, v14
	v_add_u32_e32 v17, 1, v15
	v_cndmask_b32_e64 v26, v14, v16, s[12:13]
	v_cndmask_b32_e64 v25, v17, v15, s[12:13]
	v_cmp_lt_i32_e64 s[6:7], v26, v24
	s_mov_b64 s[14:15], 0
	s_and_saveexec_b64 s[16:17], s[6:7]
	s_cbranch_execz .LBB3_80
; %bb.75:
	v_cmp_lt_i32_e64 s[6:7], v25, v23
	s_waitcnt lgkmcnt(0)
	v_cmp_nlt_f32_e64 s[8:9], v12, v10
	s_and_b64 s[14:15], s[6:7], s[8:9]
	s_mov_b64 s[6:7], -1
	s_and_saveexec_b64 s[8:9], s[14:15]
	s_cbranch_execz .LBB3_79
; %bb.76:
	v_cmp_eq_f32_e64 s[6:7], v12, v10
	s_mov_b64 s[14:15], 0
	s_and_saveexec_b64 s[18:19], s[6:7]
; %bb.77:
	v_cmp_lt_f32_e64 s[6:7], v13, v11
	s_and_b64 s[14:15], s[6:7], exec
; %bb.78:
	s_or_b64 exec, exec, s[18:19]
	s_orn2_b64 s[6:7], s[14:15], exec
.LBB3_79:
	s_or_b64 exec, exec, s[8:9]
	s_and_b64 s[14:15], s[6:7], exec
.LBB3_80:
	s_or_b64 exec, exec, s[16:17]
	s_xor_b64 s[6:7], s[14:15], -1
                                        ; implicit-def: $vgpr14
	s_and_saveexec_b64 s[8:9], s[6:7]
	s_xor_b64 s[6:7], exec, s[8:9]
; %bb.81:
	v_lshl_add_u32 v14, v25, 3, v20
	ds_read_b64 v[14:15], v14 offset:8
; %bb.82:
	s_or_saveexec_b64 s[6:7], s[6:7]
	s_waitcnt lgkmcnt(0)
	v_mov_b32_e32 v16, v12
	v_mov_b32_e32 v17, v13
	s_xor_b64 exec, exec, s[6:7]
; %bb.83:
	v_lshl_add_u32 v14, v26, 3, v20
	ds_read_b64 v[16:17], v14 offset:8
	v_mov_b32_e32 v15, v11
	v_mov_b32_e32 v14, v10
; %bb.84:
	s_or_b64 exec, exec, s[6:7]
	v_add_u32_e32 v27, 1, v26
	v_cndmask_b32_e64 v26, v26, v27, s[14:15]
	v_cmp_lt_i32_e64 s[6:7], v26, v24
	s_mov_b64 s[8:9], 0
	s_and_saveexec_b64 s[16:17], s[6:7]
	s_cbranch_execz .LBB3_90
; %bb.85:
	v_add_u32_e32 v24, 1, v25
	v_cndmask_b32_e64 v24, v24, v25, s[14:15]
	v_cmp_lt_i32_e64 s[6:7], v24, v23
	s_waitcnt lgkmcnt(0)
	v_cmp_nlt_f32_e64 s[8:9], v16, v14
	s_and_b64 s[18:19], s[6:7], s[8:9]
	s_mov_b64 s[6:7], -1
	s_and_saveexec_b64 s[8:9], s[18:19]
	s_cbranch_execz .LBB3_89
; %bb.86:
	v_cmp_eq_f32_e64 s[6:7], v16, v14
	s_mov_b64 s[18:19], 0
	s_and_saveexec_b64 s[20:21], s[6:7]
; %bb.87:
	v_cmp_lt_f32_e64 s[6:7], v17, v15
	s_and_b64 s[18:19], s[6:7], exec
; %bb.88:
	s_or_b64 exec, exec, s[20:21]
	s_orn2_b64 s[6:7], s[18:19], exec
.LBB3_89:
	s_or_b64 exec, exec, s[8:9]
	s_and_b64 s[8:9], s[6:7], exec
.LBB3_90:
	s_or_b64 exec, exec, s[16:17]
	v_cndmask_b32_e64 v6, v8, v6, s[12:13]
	v_cndmask_b32_e64 v7, v9, v7, s[12:13]
	v_cndmask_b32_e64 v2, v4, v2, s[10:11]
	v_cndmask_b32_e64 v3, v5, v3, s[10:11]
	v_cndmask_b32_e64 v10, v10, v12, s[14:15]
	v_cndmask_b32_e64 v11, v11, v13, s[14:15]
	s_waitcnt lgkmcnt(0)
	v_cndmask_b32_e64 v4, v14, v16, s[8:9]
	v_cndmask_b32_e64 v5, v15, v17, s[8:9]
	; wave barrier
	ds_write2_b64 v22, v[2:3], v[6:7] offset1:1
	ds_write2_b64 v22, v[10:11], v[4:5] offset0:2 offset1:3
	v_and_b32_e32 v3, 0x70, v21
	v_min_i32_e32 v6, v18, v3
	v_add_u32_e32 v3, 8, v6
	v_min_i32_e32 v23, v18, v3
	v_add_u32_e32 v3, 8, v23
	v_and_b32_e32 v2, 12, v21
	v_min_i32_e32 v24, v18, v3
	v_min_i32_e32 v2, v18, v2
	v_sub_u32_e32 v5, v24, v23
	v_sub_u32_e32 v3, v23, v6
	;; [unrolled: 1-line block ×3, first 2 shown]
	v_cmp_ge_i32_e64 s[6:7], v2, v5
	v_cndmask_b32_e64 v7, 0, v7, s[6:7]
	v_min_i32_e32 v3, v2, v3
	v_lshl_add_u32 v4, v6, 3, v20
	v_cmp_lt_i32_e64 s[6:7], v7, v3
	; wave barrier
	s_and_saveexec_b64 s[8:9], s[6:7]
	s_cbranch_execz .LBB3_98
; %bb.91:
	v_lshlrev_b32_e32 v5, 3, v23
	v_lshlrev_b32_e32 v8, 3, v2
	v_add3_u32 v5, v20, v5, v8
	s_mov_b64 s[10:11], 0
                                        ; implicit-def: $sgpr12_sgpr13
	s_branch .LBB3_94
.LBB3_92:                               ;   in Loop: Header=BB3_94 Depth=1
	s_or_b64 exec, exec, s[18:19]
	s_andn2_b64 s[6:7], s[12:13], exec
	s_and_b64 s[12:13], s[16:17], exec
	s_or_b64 s[12:13], s[6:7], s[12:13]
.LBB3_93:                               ;   in Loop: Header=BB3_94 Depth=1
	s_or_b64 exec, exec, s[14:15]
	v_add_u32_e32 v9, 1, v8
	v_cndmask_b32_e64 v3, v3, v8, s[12:13]
	v_cndmask_b32_e64 v7, v9, v7, s[12:13]
	v_cmp_ge_i32_e64 s[6:7], v7, v3
	s_or_b64 s[10:11], s[6:7], s[10:11]
	s_andn2_b64 exec, exec, s[10:11]
	s_cbranch_execz .LBB3_97
.LBB3_94:                               ; =>This Inner Loop Header: Depth=1
	v_sub_u32_e32 v8, v3, v7
	v_lshrrev_b32_e32 v8, 1, v8
	v_add_u32_e32 v8, v8, v7
	v_lshl_add_u32 v9, v8, 3, v4
	v_not_b32_e32 v10, v8
	v_lshl_add_u32 v10, v10, 3, v5
	ds_read_b32 v11, v9
	ds_read_b32 v12, v10
	s_or_b64 s[12:13], s[12:13], exec
	s_waitcnt lgkmcnt(0)
	v_cmp_nlt_f32_e64 s[6:7], v12, v11
	s_and_saveexec_b64 s[14:15], s[6:7]
	s_cbranch_execz .LBB3_93
; %bb.95:                               ;   in Loop: Header=BB3_94 Depth=1
	v_cmp_eq_f32_e64 s[6:7], v12, v11
	s_mov_b64 s[16:17], 0
	s_and_saveexec_b64 s[18:19], s[6:7]
	s_cbranch_execz .LBB3_92
; %bb.96:                               ;   in Loop: Header=BB3_94 Depth=1
	ds_read_b32 v10, v10 offset:4
	ds_read_b32 v9, v9 offset:4
	s_waitcnt lgkmcnt(0)
	v_cmp_lt_f32_e64 s[6:7], v10, v9
	s_and_b64 s[16:17], s[6:7], exec
	s_branch .LBB3_92
.LBB3_97:
	s_or_b64 exec, exec, s[10:11]
.LBB3_98:
	s_or_b64 exec, exec, s[8:9]
	v_add_u32_e32 v2, v23, v2
	v_sub_u32_e32 v10, v2, v7
	v_lshl_add_u32 v12, v10, 3, v20
	ds_read_b64 v[2:3], v12
	v_lshl_add_u32 v9, v7, 3, v4
	ds_read_b64 v[4:5], v9
	v_add_u32_e32 v11, v7, v6
	v_cmp_gt_i32_e64 s[6:7], v24, v10
	s_waitcnt lgkmcnt(1)
	v_mov_b32_e32 v6, v2
	v_mov_b32_e32 v7, v3
	s_mov_b64 s[10:11], 0
	s_and_saveexec_b64 s[12:13], s[6:7]
	s_cbranch_execz .LBB3_104
; %bb.99:
	v_cmp_gt_i32_e64 s[6:7], v23, v11
	s_waitcnt lgkmcnt(0)
	v_cmp_nlt_f32_e64 s[8:9], v2, v4
	s_and_b64 s[10:11], s[6:7], s[8:9]
	s_mov_b64 s[6:7], -1
	s_and_saveexec_b64 s[8:9], s[10:11]
	s_cbranch_execz .LBB3_103
; %bb.100:
	v_cmp_eq_f32_e64 s[6:7], v2, v4
	s_mov_b64 s[10:11], 0
	s_and_saveexec_b64 s[14:15], s[6:7]
; %bb.101:
	v_cmp_lt_f32_e64 s[6:7], v3, v5
	s_and_b64 s[10:11], s[6:7], exec
; %bb.102:
	s_or_b64 exec, exec, s[14:15]
	s_orn2_b64 s[6:7], s[10:11], exec
.LBB3_103:
	s_or_b64 exec, exec, s[8:9]
	s_and_b64 s[10:11], s[6:7], exec
.LBB3_104:
	s_or_b64 exec, exec, s[12:13]
	s_xor_b64 s[6:7], s[10:11], -1
                                        ; implicit-def: $vgpr8
	s_and_saveexec_b64 s[8:9], s[6:7]
	s_xor_b64 s[6:7], exec, s[8:9]
; %bb.105:
	ds_read_b64 v[8:9], v9 offset:8
                                        ; implicit-def: $vgpr12
; %bb.106:
	s_andn2_saveexec_b64 s[6:7], s[6:7]
	s_cbranch_execz .LBB3_108
; %bb.107:
	ds_read_b64 v[6:7], v12 offset:8
	s_waitcnt lgkmcnt(1)
	v_mov_b32_e32 v9, v5
	v_mov_b32_e32 v8, v4
.LBB3_108:
	s_or_b64 exec, exec, s[6:7]
	v_add_u32_e32 v12, 1, v10
	v_add_u32_e32 v13, 1, v11
	v_cndmask_b32_e64 v14, v10, v12, s[10:11]
	v_cndmask_b32_e64 v15, v13, v11, s[10:11]
	v_cmp_lt_i32_e64 s[6:7], v14, v24
	s_mov_b64 s[12:13], 0
	s_and_saveexec_b64 s[14:15], s[6:7]
	s_cbranch_execz .LBB3_114
; %bb.109:
	v_cmp_lt_i32_e64 s[6:7], v15, v23
	s_waitcnt lgkmcnt(0)
	v_cmp_nlt_f32_e64 s[8:9], v6, v8
	s_and_b64 s[12:13], s[6:7], s[8:9]
	s_mov_b64 s[6:7], -1
	s_and_saveexec_b64 s[8:9], s[12:13]
	s_cbranch_execz .LBB3_113
; %bb.110:
	v_cmp_eq_f32_e64 s[6:7], v6, v8
	s_mov_b64 s[12:13], 0
	s_and_saveexec_b64 s[16:17], s[6:7]
; %bb.111:
	v_cmp_lt_f32_e64 s[6:7], v7, v9
	s_and_b64 s[12:13], s[6:7], exec
; %bb.112:
	s_or_b64 exec, exec, s[16:17]
	s_orn2_b64 s[6:7], s[12:13], exec
.LBB3_113:
	s_or_b64 exec, exec, s[8:9]
	s_and_b64 s[12:13], s[6:7], exec
.LBB3_114:
	s_or_b64 exec, exec, s[14:15]
	s_xor_b64 s[6:7], s[12:13], -1
                                        ; implicit-def: $vgpr10
	s_and_saveexec_b64 s[8:9], s[6:7]
	s_xor_b64 s[6:7], exec, s[8:9]
; %bb.115:
	v_lshl_add_u32 v10, v15, 3, v20
	ds_read_b64 v[10:11], v10 offset:8
; %bb.116:
	s_or_saveexec_b64 s[6:7], s[6:7]
	s_waitcnt lgkmcnt(0)
	v_mov_b32_e32 v12, v6
	v_mov_b32_e32 v13, v7
	s_xor_b64 exec, exec, s[6:7]
; %bb.117:
	v_lshl_add_u32 v10, v14, 3, v20
	ds_read_b64 v[12:13], v10 offset:8
	v_mov_b32_e32 v11, v9
	v_mov_b32_e32 v10, v8
; %bb.118:
	s_or_b64 exec, exec, s[6:7]
	v_add_u32_e32 v16, 1, v14
	v_add_u32_e32 v17, 1, v15
	v_cndmask_b32_e64 v26, v14, v16, s[12:13]
	v_cndmask_b32_e64 v25, v17, v15, s[12:13]
	v_cmp_lt_i32_e64 s[6:7], v26, v24
	s_mov_b64 s[14:15], 0
	s_and_saveexec_b64 s[16:17], s[6:7]
	s_cbranch_execz .LBB3_124
; %bb.119:
	v_cmp_lt_i32_e64 s[6:7], v25, v23
	s_waitcnt lgkmcnt(0)
	v_cmp_nlt_f32_e64 s[8:9], v12, v10
	s_and_b64 s[14:15], s[6:7], s[8:9]
	s_mov_b64 s[6:7], -1
	s_and_saveexec_b64 s[8:9], s[14:15]
	s_cbranch_execz .LBB3_123
; %bb.120:
	v_cmp_eq_f32_e64 s[6:7], v12, v10
	s_mov_b64 s[14:15], 0
	s_and_saveexec_b64 s[18:19], s[6:7]
; %bb.121:
	v_cmp_lt_f32_e64 s[6:7], v13, v11
	s_and_b64 s[14:15], s[6:7], exec
; %bb.122:
	s_or_b64 exec, exec, s[18:19]
	s_orn2_b64 s[6:7], s[14:15], exec
.LBB3_123:
	s_or_b64 exec, exec, s[8:9]
	s_and_b64 s[14:15], s[6:7], exec
.LBB3_124:
	s_or_b64 exec, exec, s[16:17]
	s_xor_b64 s[6:7], s[14:15], -1
                                        ; implicit-def: $vgpr14
	s_and_saveexec_b64 s[8:9], s[6:7]
	s_xor_b64 s[6:7], exec, s[8:9]
; %bb.125:
	v_lshl_add_u32 v14, v25, 3, v20
	ds_read_b64 v[14:15], v14 offset:8
; %bb.126:
	s_or_saveexec_b64 s[6:7], s[6:7]
	s_waitcnt lgkmcnt(0)
	v_mov_b32_e32 v16, v12
	v_mov_b32_e32 v17, v13
	s_xor_b64 exec, exec, s[6:7]
; %bb.127:
	v_lshl_add_u32 v14, v26, 3, v20
	ds_read_b64 v[16:17], v14 offset:8
	v_mov_b32_e32 v15, v11
	v_mov_b32_e32 v14, v10
; %bb.128:
	s_or_b64 exec, exec, s[6:7]
	v_add_u32_e32 v27, 1, v26
	v_cndmask_b32_e64 v26, v26, v27, s[14:15]
	v_cmp_lt_i32_e64 s[6:7], v26, v24
	s_mov_b64 s[8:9], 0
	s_and_saveexec_b64 s[16:17], s[6:7]
	s_cbranch_execz .LBB3_134
; %bb.129:
	v_add_u32_e32 v24, 1, v25
	v_cndmask_b32_e64 v24, v24, v25, s[14:15]
	v_cmp_lt_i32_e64 s[6:7], v24, v23
	s_waitcnt lgkmcnt(0)
	v_cmp_nlt_f32_e64 s[8:9], v16, v14
	s_and_b64 s[18:19], s[6:7], s[8:9]
	s_mov_b64 s[6:7], -1
	s_and_saveexec_b64 s[8:9], s[18:19]
	s_cbranch_execz .LBB3_133
; %bb.130:
	v_cmp_eq_f32_e64 s[6:7], v16, v14
	s_mov_b64 s[18:19], 0
	s_and_saveexec_b64 s[20:21], s[6:7]
; %bb.131:
	v_cmp_lt_f32_e64 s[6:7], v17, v15
	s_and_b64 s[18:19], s[6:7], exec
; %bb.132:
	s_or_b64 exec, exec, s[20:21]
	s_orn2_b64 s[6:7], s[18:19], exec
.LBB3_133:
	s_or_b64 exec, exec, s[8:9]
	s_and_b64 s[8:9], s[6:7], exec
.LBB3_134:
	s_or_b64 exec, exec, s[16:17]
	v_cndmask_b32_e64 v6, v8, v6, s[12:13]
	v_cndmask_b32_e64 v7, v9, v7, s[12:13]
	;; [unrolled: 1-line block ×6, first 2 shown]
	s_waitcnt lgkmcnt(0)
	v_cndmask_b32_e64 v4, v14, v16, s[8:9]
	v_cndmask_b32_e64 v5, v15, v17, s[8:9]
	; wave barrier
	ds_write2_b64 v22, v[2:3], v[6:7] offset1:1
	ds_write2_b64 v22, v[10:11], v[4:5] offset0:2 offset1:3
	v_and_b32_e32 v3, 0x60, v21
	v_min_i32_e32 v6, v18, v3
	v_add_u32_e32 v3, 16, v6
	v_min_i32_e32 v23, v18, v3
	v_add_u32_e32 v3, 16, v23
	v_and_b32_e32 v2, 28, v21
	v_min_i32_e32 v24, v18, v3
	v_min_i32_e32 v2, v18, v2
	v_sub_u32_e32 v5, v24, v23
	v_sub_u32_e32 v3, v23, v6
	;; [unrolled: 1-line block ×3, first 2 shown]
	v_cmp_ge_i32_e64 s[6:7], v2, v5
	v_cndmask_b32_e64 v7, 0, v7, s[6:7]
	v_min_i32_e32 v3, v2, v3
	v_lshl_add_u32 v4, v6, 3, v20
	v_cmp_lt_i32_e64 s[6:7], v7, v3
	; wave barrier
	s_and_saveexec_b64 s[8:9], s[6:7]
	s_cbranch_execz .LBB3_142
; %bb.135:
	v_lshlrev_b32_e32 v5, 3, v23
	v_lshlrev_b32_e32 v8, 3, v2
	v_add3_u32 v5, v20, v5, v8
	s_mov_b64 s[10:11], 0
                                        ; implicit-def: $sgpr12_sgpr13
	s_branch .LBB3_138
.LBB3_136:                              ;   in Loop: Header=BB3_138 Depth=1
	s_or_b64 exec, exec, s[18:19]
	s_andn2_b64 s[6:7], s[12:13], exec
	s_and_b64 s[12:13], s[16:17], exec
	s_or_b64 s[12:13], s[6:7], s[12:13]
.LBB3_137:                              ;   in Loop: Header=BB3_138 Depth=1
	s_or_b64 exec, exec, s[14:15]
	v_add_u32_e32 v9, 1, v8
	v_cndmask_b32_e64 v3, v3, v8, s[12:13]
	v_cndmask_b32_e64 v7, v9, v7, s[12:13]
	v_cmp_ge_i32_e64 s[6:7], v7, v3
	s_or_b64 s[10:11], s[6:7], s[10:11]
	s_andn2_b64 exec, exec, s[10:11]
	s_cbranch_execz .LBB3_141
.LBB3_138:                              ; =>This Inner Loop Header: Depth=1
	v_sub_u32_e32 v8, v3, v7
	v_lshrrev_b32_e32 v8, 1, v8
	v_add_u32_e32 v8, v8, v7
	v_lshl_add_u32 v9, v8, 3, v4
	v_not_b32_e32 v10, v8
	v_lshl_add_u32 v10, v10, 3, v5
	ds_read_b32 v11, v9
	ds_read_b32 v12, v10
	s_or_b64 s[12:13], s[12:13], exec
	s_waitcnt lgkmcnt(0)
	v_cmp_nlt_f32_e64 s[6:7], v12, v11
	s_and_saveexec_b64 s[14:15], s[6:7]
	s_cbranch_execz .LBB3_137
; %bb.139:                              ;   in Loop: Header=BB3_138 Depth=1
	v_cmp_eq_f32_e64 s[6:7], v12, v11
	s_mov_b64 s[16:17], 0
	s_and_saveexec_b64 s[18:19], s[6:7]
	s_cbranch_execz .LBB3_136
; %bb.140:                              ;   in Loop: Header=BB3_138 Depth=1
	ds_read_b32 v10, v10 offset:4
	ds_read_b32 v9, v9 offset:4
	s_waitcnt lgkmcnt(0)
	v_cmp_lt_f32_e64 s[6:7], v10, v9
	s_and_b64 s[16:17], s[6:7], exec
	s_branch .LBB3_136
.LBB3_141:
	s_or_b64 exec, exec, s[10:11]
.LBB3_142:
	s_or_b64 exec, exec, s[8:9]
	v_add_u32_e32 v2, v23, v2
	v_sub_u32_e32 v10, v2, v7
	v_lshl_add_u32 v12, v10, 3, v20
	ds_read_b64 v[2:3], v12
	v_lshl_add_u32 v9, v7, 3, v4
	ds_read_b64 v[4:5], v9
	v_add_u32_e32 v11, v7, v6
	v_cmp_gt_i32_e64 s[6:7], v24, v10
	s_waitcnt lgkmcnt(1)
	v_mov_b32_e32 v6, v2
	v_mov_b32_e32 v7, v3
	s_mov_b64 s[10:11], 0
	s_and_saveexec_b64 s[12:13], s[6:7]
	s_cbranch_execz .LBB3_148
; %bb.143:
	v_cmp_gt_i32_e64 s[6:7], v23, v11
	s_waitcnt lgkmcnt(0)
	v_cmp_nlt_f32_e64 s[8:9], v2, v4
	s_and_b64 s[10:11], s[6:7], s[8:9]
	s_mov_b64 s[6:7], -1
	s_and_saveexec_b64 s[8:9], s[10:11]
	s_cbranch_execz .LBB3_147
; %bb.144:
	v_cmp_eq_f32_e64 s[6:7], v2, v4
	s_mov_b64 s[10:11], 0
	s_and_saveexec_b64 s[14:15], s[6:7]
; %bb.145:
	v_cmp_lt_f32_e64 s[6:7], v3, v5
	s_and_b64 s[10:11], s[6:7], exec
; %bb.146:
	s_or_b64 exec, exec, s[14:15]
	s_orn2_b64 s[6:7], s[10:11], exec
.LBB3_147:
	s_or_b64 exec, exec, s[8:9]
	s_and_b64 s[10:11], s[6:7], exec
.LBB3_148:
	s_or_b64 exec, exec, s[12:13]
	s_xor_b64 s[6:7], s[10:11], -1
                                        ; implicit-def: $vgpr8
	s_and_saveexec_b64 s[8:9], s[6:7]
	s_xor_b64 s[6:7], exec, s[8:9]
; %bb.149:
	ds_read_b64 v[8:9], v9 offset:8
                                        ; implicit-def: $vgpr12
; %bb.150:
	s_andn2_saveexec_b64 s[6:7], s[6:7]
	s_cbranch_execz .LBB3_152
; %bb.151:
	ds_read_b64 v[6:7], v12 offset:8
	s_waitcnt lgkmcnt(1)
	v_mov_b32_e32 v9, v5
	v_mov_b32_e32 v8, v4
.LBB3_152:
	s_or_b64 exec, exec, s[6:7]
	v_add_u32_e32 v12, 1, v10
	v_add_u32_e32 v13, 1, v11
	v_cndmask_b32_e64 v14, v10, v12, s[10:11]
	v_cndmask_b32_e64 v15, v13, v11, s[10:11]
	v_cmp_lt_i32_e64 s[6:7], v14, v24
	s_mov_b64 s[12:13], 0
	s_and_saveexec_b64 s[14:15], s[6:7]
	s_cbranch_execz .LBB3_158
; %bb.153:
	v_cmp_lt_i32_e64 s[6:7], v15, v23
	s_waitcnt lgkmcnt(0)
	v_cmp_nlt_f32_e64 s[8:9], v6, v8
	s_and_b64 s[12:13], s[6:7], s[8:9]
	s_mov_b64 s[6:7], -1
	s_and_saveexec_b64 s[8:9], s[12:13]
	s_cbranch_execz .LBB3_157
; %bb.154:
	v_cmp_eq_f32_e64 s[6:7], v6, v8
	s_mov_b64 s[12:13], 0
	s_and_saveexec_b64 s[16:17], s[6:7]
; %bb.155:
	v_cmp_lt_f32_e64 s[6:7], v7, v9
	s_and_b64 s[12:13], s[6:7], exec
; %bb.156:
	s_or_b64 exec, exec, s[16:17]
	s_orn2_b64 s[6:7], s[12:13], exec
.LBB3_157:
	s_or_b64 exec, exec, s[8:9]
	s_and_b64 s[12:13], s[6:7], exec
.LBB3_158:
	s_or_b64 exec, exec, s[14:15]
	s_xor_b64 s[6:7], s[12:13], -1
                                        ; implicit-def: $vgpr10
	s_and_saveexec_b64 s[8:9], s[6:7]
	s_xor_b64 s[6:7], exec, s[8:9]
; %bb.159:
	v_lshl_add_u32 v10, v15, 3, v20
	ds_read_b64 v[10:11], v10 offset:8
; %bb.160:
	s_or_saveexec_b64 s[6:7], s[6:7]
	s_waitcnt lgkmcnt(0)
	v_mov_b32_e32 v12, v6
	v_mov_b32_e32 v13, v7
	s_xor_b64 exec, exec, s[6:7]
; %bb.161:
	v_lshl_add_u32 v10, v14, 3, v20
	ds_read_b64 v[12:13], v10 offset:8
	v_mov_b32_e32 v11, v9
	v_mov_b32_e32 v10, v8
; %bb.162:
	s_or_b64 exec, exec, s[6:7]
	v_add_u32_e32 v16, 1, v14
	v_add_u32_e32 v17, 1, v15
	v_cndmask_b32_e64 v26, v14, v16, s[12:13]
	v_cndmask_b32_e64 v25, v17, v15, s[12:13]
	v_cmp_lt_i32_e64 s[6:7], v26, v24
	s_mov_b64 s[14:15], 0
	s_and_saveexec_b64 s[16:17], s[6:7]
	s_cbranch_execz .LBB3_168
; %bb.163:
	v_cmp_lt_i32_e64 s[6:7], v25, v23
	s_waitcnt lgkmcnt(0)
	v_cmp_nlt_f32_e64 s[8:9], v12, v10
	s_and_b64 s[14:15], s[6:7], s[8:9]
	s_mov_b64 s[6:7], -1
	s_and_saveexec_b64 s[8:9], s[14:15]
	s_cbranch_execz .LBB3_167
; %bb.164:
	v_cmp_eq_f32_e64 s[6:7], v12, v10
	s_mov_b64 s[14:15], 0
	s_and_saveexec_b64 s[18:19], s[6:7]
; %bb.165:
	v_cmp_lt_f32_e64 s[6:7], v13, v11
	s_and_b64 s[14:15], s[6:7], exec
; %bb.166:
	s_or_b64 exec, exec, s[18:19]
	s_orn2_b64 s[6:7], s[14:15], exec
.LBB3_167:
	s_or_b64 exec, exec, s[8:9]
	s_and_b64 s[14:15], s[6:7], exec
.LBB3_168:
	s_or_b64 exec, exec, s[16:17]
	s_xor_b64 s[6:7], s[14:15], -1
                                        ; implicit-def: $vgpr14
	s_and_saveexec_b64 s[8:9], s[6:7]
	s_xor_b64 s[6:7], exec, s[8:9]
; %bb.169:
	v_lshl_add_u32 v14, v25, 3, v20
	ds_read_b64 v[14:15], v14 offset:8
; %bb.170:
	s_or_saveexec_b64 s[6:7], s[6:7]
	s_waitcnt lgkmcnt(0)
	v_mov_b32_e32 v16, v12
	v_mov_b32_e32 v17, v13
	s_xor_b64 exec, exec, s[6:7]
; %bb.171:
	v_lshl_add_u32 v14, v26, 3, v20
	ds_read_b64 v[16:17], v14 offset:8
	v_mov_b32_e32 v15, v11
	v_mov_b32_e32 v14, v10
; %bb.172:
	s_or_b64 exec, exec, s[6:7]
	v_add_u32_e32 v27, 1, v26
	v_cndmask_b32_e64 v26, v26, v27, s[14:15]
	v_cmp_lt_i32_e64 s[6:7], v26, v24
	s_mov_b64 s[8:9], 0
	s_and_saveexec_b64 s[16:17], s[6:7]
	s_cbranch_execz .LBB3_178
; %bb.173:
	v_add_u32_e32 v24, 1, v25
	v_cndmask_b32_e64 v24, v24, v25, s[14:15]
	v_cmp_lt_i32_e64 s[6:7], v24, v23
	s_waitcnt lgkmcnt(0)
	v_cmp_nlt_f32_e64 s[8:9], v16, v14
	s_and_b64 s[18:19], s[6:7], s[8:9]
	s_mov_b64 s[6:7], -1
	s_and_saveexec_b64 s[8:9], s[18:19]
	s_cbranch_execz .LBB3_177
; %bb.174:
	v_cmp_eq_f32_e64 s[6:7], v16, v14
	s_mov_b64 s[18:19], 0
	s_and_saveexec_b64 s[20:21], s[6:7]
; %bb.175:
	v_cmp_lt_f32_e64 s[6:7], v17, v15
	s_and_b64 s[18:19], s[6:7], exec
; %bb.176:
	s_or_b64 exec, exec, s[20:21]
	s_orn2_b64 s[6:7], s[18:19], exec
.LBB3_177:
	s_or_b64 exec, exec, s[8:9]
	s_and_b64 s[8:9], s[6:7], exec
.LBB3_178:
	s_or_b64 exec, exec, s[16:17]
	v_cndmask_b32_e64 v6, v8, v6, s[12:13]
	v_cndmask_b32_e64 v7, v9, v7, s[12:13]
	;; [unrolled: 1-line block ×6, first 2 shown]
	s_waitcnt lgkmcnt(0)
	v_cndmask_b32_e64 v4, v14, v16, s[8:9]
	v_cndmask_b32_e64 v5, v15, v17, s[8:9]
	; wave barrier
	ds_write2_b64 v22, v[2:3], v[6:7] offset1:1
	ds_write2_b64 v22, v[10:11], v[4:5] offset0:2 offset1:3
	v_and_b32_e32 v3, 64, v21
	v_min_i32_e32 v6, v18, v3
	v_add_u32_e32 v3, 32, v6
	v_and_b32_e32 v2, 60, v21
	v_min_i32_e32 v21, v18, v3
	v_add_u32_e32 v3, 32, v21
	v_min_i32_e32 v23, v18, v3
	v_min_i32_e32 v2, v18, v2
	v_sub_u32_e32 v5, v23, v21
	v_sub_u32_e32 v3, v21, v6
	;; [unrolled: 1-line block ×3, first 2 shown]
	v_cmp_ge_i32_e64 s[6:7], v2, v5
	v_cndmask_b32_e64 v7, 0, v7, s[6:7]
	v_min_i32_e32 v3, v2, v3
	v_lshl_add_u32 v4, v6, 3, v20
	v_cmp_lt_i32_e64 s[6:7], v7, v3
	; wave barrier
	s_and_saveexec_b64 s[8:9], s[6:7]
	s_cbranch_execz .LBB3_186
; %bb.179:
	v_lshlrev_b32_e32 v5, 3, v21
	v_lshlrev_b32_e32 v8, 3, v2
	v_add3_u32 v5, v20, v5, v8
	s_mov_b64 s[10:11], 0
                                        ; implicit-def: $sgpr12_sgpr13
	s_branch .LBB3_182
.LBB3_180:                              ;   in Loop: Header=BB3_182 Depth=1
	s_or_b64 exec, exec, s[18:19]
	s_andn2_b64 s[6:7], s[12:13], exec
	s_and_b64 s[12:13], s[16:17], exec
	s_or_b64 s[12:13], s[6:7], s[12:13]
.LBB3_181:                              ;   in Loop: Header=BB3_182 Depth=1
	s_or_b64 exec, exec, s[14:15]
	v_add_u32_e32 v9, 1, v8
	v_cndmask_b32_e64 v3, v3, v8, s[12:13]
	v_cndmask_b32_e64 v7, v9, v7, s[12:13]
	v_cmp_ge_i32_e64 s[6:7], v7, v3
	s_or_b64 s[10:11], s[6:7], s[10:11]
	s_andn2_b64 exec, exec, s[10:11]
	s_cbranch_execz .LBB3_185
.LBB3_182:                              ; =>This Inner Loop Header: Depth=1
	v_sub_u32_e32 v8, v3, v7
	v_lshrrev_b32_e32 v8, 1, v8
	v_add_u32_e32 v8, v8, v7
	v_lshl_add_u32 v9, v8, 3, v4
	v_not_b32_e32 v10, v8
	v_lshl_add_u32 v10, v10, 3, v5
	ds_read_b32 v11, v9
	ds_read_b32 v12, v10
	s_or_b64 s[12:13], s[12:13], exec
	s_waitcnt lgkmcnt(0)
	v_cmp_nlt_f32_e64 s[6:7], v12, v11
	s_and_saveexec_b64 s[14:15], s[6:7]
	s_cbranch_execz .LBB3_181
; %bb.183:                              ;   in Loop: Header=BB3_182 Depth=1
	v_cmp_eq_f32_e64 s[6:7], v12, v11
	s_mov_b64 s[16:17], 0
	s_and_saveexec_b64 s[18:19], s[6:7]
	s_cbranch_execz .LBB3_180
; %bb.184:                              ;   in Loop: Header=BB3_182 Depth=1
	ds_read_b32 v10, v10 offset:4
	ds_read_b32 v9, v9 offset:4
	s_waitcnt lgkmcnt(0)
	v_cmp_lt_f32_e64 s[6:7], v10, v9
	s_and_b64 s[16:17], s[6:7], exec
	s_branch .LBB3_180
.LBB3_185:
	s_or_b64 exec, exec, s[10:11]
.LBB3_186:
	s_or_b64 exec, exec, s[8:9]
	v_add_u32_e32 v2, v21, v2
	v_sub_u32_e32 v10, v2, v7
	v_lshl_add_u32 v12, v10, 3, v20
	ds_read_b64 v[2:3], v12
	v_lshl_add_u32 v9, v7, 3, v4
	ds_read_b64 v[4:5], v9
	v_add_u32_e32 v11, v7, v6
	v_cmp_gt_i32_e64 s[6:7], v23, v10
	s_waitcnt lgkmcnt(1)
	v_mov_b32_e32 v6, v2
	v_mov_b32_e32 v7, v3
	s_mov_b64 s[10:11], 0
	s_and_saveexec_b64 s[12:13], s[6:7]
	s_cbranch_execz .LBB3_192
; %bb.187:
	v_cmp_gt_i32_e64 s[6:7], v21, v11
	s_waitcnt lgkmcnt(0)
	v_cmp_nlt_f32_e64 s[8:9], v2, v4
	s_and_b64 s[10:11], s[6:7], s[8:9]
	s_mov_b64 s[6:7], -1
	s_and_saveexec_b64 s[8:9], s[10:11]
	s_cbranch_execz .LBB3_191
; %bb.188:
	v_cmp_eq_f32_e64 s[6:7], v2, v4
	s_mov_b64 s[10:11], 0
	s_and_saveexec_b64 s[14:15], s[6:7]
; %bb.189:
	v_cmp_lt_f32_e64 s[6:7], v3, v5
	s_and_b64 s[10:11], s[6:7], exec
; %bb.190:
	s_or_b64 exec, exec, s[14:15]
	s_orn2_b64 s[6:7], s[10:11], exec
.LBB3_191:
	s_or_b64 exec, exec, s[8:9]
	s_and_b64 s[10:11], s[6:7], exec
.LBB3_192:
	s_or_b64 exec, exec, s[12:13]
	s_xor_b64 s[6:7], s[10:11], -1
                                        ; implicit-def: $vgpr8
	s_and_saveexec_b64 s[8:9], s[6:7]
	s_xor_b64 s[6:7], exec, s[8:9]
; %bb.193:
	ds_read_b64 v[8:9], v9 offset:8
                                        ; implicit-def: $vgpr12
; %bb.194:
	s_andn2_saveexec_b64 s[6:7], s[6:7]
	s_cbranch_execz .LBB3_196
; %bb.195:
	ds_read_b64 v[6:7], v12 offset:8
	s_waitcnt lgkmcnt(1)
	v_mov_b32_e32 v9, v5
	v_mov_b32_e32 v8, v4
.LBB3_196:
	s_or_b64 exec, exec, s[6:7]
	v_add_u32_e32 v12, 1, v10
	v_add_u32_e32 v13, 1, v11
	v_cndmask_b32_e64 v14, v10, v12, s[10:11]
	v_cndmask_b32_e64 v15, v13, v11, s[10:11]
	v_cmp_lt_i32_e64 s[6:7], v14, v23
	s_mov_b64 s[12:13], 0
	s_and_saveexec_b64 s[14:15], s[6:7]
	s_cbranch_execz .LBB3_202
; %bb.197:
	v_cmp_lt_i32_e64 s[6:7], v15, v21
	s_waitcnt lgkmcnt(0)
	v_cmp_nlt_f32_e64 s[8:9], v6, v8
	s_and_b64 s[12:13], s[6:7], s[8:9]
	s_mov_b64 s[6:7], -1
	s_and_saveexec_b64 s[8:9], s[12:13]
	s_cbranch_execz .LBB3_201
; %bb.198:
	v_cmp_eq_f32_e64 s[6:7], v6, v8
	s_mov_b64 s[12:13], 0
	s_and_saveexec_b64 s[16:17], s[6:7]
; %bb.199:
	v_cmp_lt_f32_e64 s[6:7], v7, v9
	s_and_b64 s[12:13], s[6:7], exec
; %bb.200:
	s_or_b64 exec, exec, s[16:17]
	s_orn2_b64 s[6:7], s[12:13], exec
.LBB3_201:
	s_or_b64 exec, exec, s[8:9]
	s_and_b64 s[12:13], s[6:7], exec
.LBB3_202:
	s_or_b64 exec, exec, s[14:15]
	s_xor_b64 s[6:7], s[12:13], -1
                                        ; implicit-def: $vgpr10
	s_and_saveexec_b64 s[8:9], s[6:7]
	s_xor_b64 s[6:7], exec, s[8:9]
; %bb.203:
	v_lshl_add_u32 v10, v15, 3, v20
	ds_read_b64 v[10:11], v10 offset:8
; %bb.204:
	s_or_saveexec_b64 s[6:7], s[6:7]
	s_waitcnt lgkmcnt(0)
	v_mov_b32_e32 v12, v6
	v_mov_b32_e32 v13, v7
	s_xor_b64 exec, exec, s[6:7]
; %bb.205:
	v_lshl_add_u32 v10, v14, 3, v20
	ds_read_b64 v[12:13], v10 offset:8
	v_mov_b32_e32 v11, v9
	v_mov_b32_e32 v10, v8
; %bb.206:
	s_or_b64 exec, exec, s[6:7]
	v_add_u32_e32 v16, 1, v14
	v_add_u32_e32 v17, 1, v15
	v_cndmask_b32_e64 v25, v14, v16, s[12:13]
	v_cndmask_b32_e64 v24, v17, v15, s[12:13]
	v_cmp_lt_i32_e64 s[6:7], v25, v23
	s_mov_b64 s[14:15], 0
	s_and_saveexec_b64 s[16:17], s[6:7]
	s_cbranch_execz .LBB3_212
; %bb.207:
	v_cmp_lt_i32_e64 s[6:7], v24, v21
	s_waitcnt lgkmcnt(0)
	v_cmp_nlt_f32_e64 s[8:9], v12, v10
	s_and_b64 s[14:15], s[6:7], s[8:9]
	s_mov_b64 s[6:7], -1
	s_and_saveexec_b64 s[8:9], s[14:15]
	s_cbranch_execz .LBB3_211
; %bb.208:
	v_cmp_eq_f32_e64 s[6:7], v12, v10
	s_mov_b64 s[14:15], 0
	s_and_saveexec_b64 s[18:19], s[6:7]
; %bb.209:
	v_cmp_lt_f32_e64 s[6:7], v13, v11
	s_and_b64 s[14:15], s[6:7], exec
; %bb.210:
	s_or_b64 exec, exec, s[18:19]
	s_orn2_b64 s[6:7], s[14:15], exec
.LBB3_211:
	s_or_b64 exec, exec, s[8:9]
	s_and_b64 s[14:15], s[6:7], exec
.LBB3_212:
	s_or_b64 exec, exec, s[16:17]
	s_xor_b64 s[6:7], s[14:15], -1
                                        ; implicit-def: $vgpr14
	s_and_saveexec_b64 s[8:9], s[6:7]
	s_xor_b64 s[6:7], exec, s[8:9]
; %bb.213:
	v_lshl_add_u32 v14, v24, 3, v20
	ds_read_b64 v[14:15], v14 offset:8
; %bb.214:
	s_or_saveexec_b64 s[6:7], s[6:7]
	s_waitcnt lgkmcnt(0)
	v_mov_b32_e32 v16, v12
	v_mov_b32_e32 v17, v13
	s_xor_b64 exec, exec, s[6:7]
; %bb.215:
	v_lshl_add_u32 v14, v25, 3, v20
	ds_read_b64 v[16:17], v14 offset:8
	v_mov_b32_e32 v15, v11
	v_mov_b32_e32 v14, v10
; %bb.216:
	s_or_b64 exec, exec, s[6:7]
	v_add_u32_e32 v26, 1, v25
	v_cndmask_b32_e64 v25, v25, v26, s[14:15]
	v_cmp_lt_i32_e64 s[6:7], v25, v23
	s_mov_b64 s[8:9], 0
	s_and_saveexec_b64 s[16:17], s[6:7]
	s_cbranch_execz .LBB3_222
; %bb.217:
	v_add_u32_e32 v23, 1, v24
	v_cndmask_b32_e64 v23, v23, v24, s[14:15]
	v_cmp_lt_i32_e64 s[6:7], v23, v21
	s_waitcnt lgkmcnt(0)
	v_cmp_nlt_f32_e64 s[8:9], v16, v14
	s_and_b64 s[18:19], s[6:7], s[8:9]
	s_mov_b64 s[6:7], -1
	s_and_saveexec_b64 s[8:9], s[18:19]
	s_cbranch_execz .LBB3_221
; %bb.218:
	v_cmp_eq_f32_e64 s[6:7], v16, v14
	s_mov_b64 s[18:19], 0
	s_and_saveexec_b64 s[20:21], s[6:7]
; %bb.219:
	v_cmp_lt_f32_e64 s[6:7], v17, v15
	s_and_b64 s[18:19], s[6:7], exec
; %bb.220:
	s_or_b64 exec, exec, s[20:21]
	s_orn2_b64 s[6:7], s[18:19], exec
.LBB3_221:
	s_or_b64 exec, exec, s[8:9]
	s_and_b64 s[8:9], s[6:7], exec
.LBB3_222:
	s_or_b64 exec, exec, s[16:17]
	v_cndmask_b32_e64 v6, v8, v6, s[12:13]
	v_cndmask_b32_e64 v7, v9, v7, s[12:13]
	;; [unrolled: 1-line block ×6, first 2 shown]
	s_waitcnt lgkmcnt(0)
	v_cndmask_b32_e64 v4, v14, v16, s[8:9]
	v_cndmask_b32_e64 v5, v15, v17, s[8:9]
	; wave barrier
	ds_write2_b64 v22, v[2:3], v[6:7] offset1:1
	ds_write2_b64 v22, v[10:11], v[4:5] offset0:2 offset1:3
	v_min_i32_e32 v2, 0, v18
	v_add_u32_e32 v4, 64, v2
	v_min_i32_e32 v3, v18, v19
	v_min_i32_e32 v19, v18, v4
	v_add_u32_e32 v4, 64, v19
	v_min_i32_e32 v18, v18, v4
	v_sub_u32_e32 v5, v18, v19
	v_sub_u32_e32 v4, v19, v2
	;; [unrolled: 1-line block ×3, first 2 shown]
	v_cmp_ge_i32_e64 s[6:7], v3, v5
	v_cndmask_b32_e64 v8, 0, v7, s[6:7]
	v_min_i32_e32 v4, v3, v4
	v_lshl_add_u32 v6, v2, 3, v20
	v_cmp_lt_i32_e64 s[6:7], v8, v4
	; wave barrier
	s_and_saveexec_b64 s[8:9], s[6:7]
	s_cbranch_execz .LBB3_230
; %bb.223:
	v_lshlrev_b32_e32 v5, 3, v19
	v_lshlrev_b32_e32 v7, 3, v3
	v_add3_u32 v5, v20, v5, v7
	s_mov_b64 s[10:11], 0
                                        ; implicit-def: $sgpr12_sgpr13
	s_branch .LBB3_226
.LBB3_224:                              ;   in Loop: Header=BB3_226 Depth=1
	s_or_b64 exec, exec, s[18:19]
	s_andn2_b64 s[6:7], s[12:13], exec
	s_and_b64 s[12:13], s[16:17], exec
	s_or_b64 s[12:13], s[6:7], s[12:13]
.LBB3_225:                              ;   in Loop: Header=BB3_226 Depth=1
	s_or_b64 exec, exec, s[14:15]
	v_add_u32_e32 v9, 1, v7
	v_cndmask_b32_e64 v4, v4, v7, s[12:13]
	v_cndmask_b32_e64 v8, v9, v8, s[12:13]
	v_cmp_ge_i32_e64 s[6:7], v8, v4
	s_or_b64 s[10:11], s[6:7], s[10:11]
	s_andn2_b64 exec, exec, s[10:11]
	s_cbranch_execz .LBB3_229
.LBB3_226:                              ; =>This Inner Loop Header: Depth=1
	v_sub_u32_e32 v7, v4, v8
	v_lshrrev_b32_e32 v7, 1, v7
	v_add_u32_e32 v7, v7, v8
	v_lshl_add_u32 v9, v7, 3, v6
	v_not_b32_e32 v10, v7
	v_lshl_add_u32 v10, v10, 3, v5
	ds_read_b32 v11, v9
	ds_read_b32 v12, v10
	s_or_b64 s[12:13], s[12:13], exec
	s_waitcnt lgkmcnt(0)
	v_cmp_nlt_f32_e64 s[6:7], v12, v11
	s_and_saveexec_b64 s[14:15], s[6:7]
	s_cbranch_execz .LBB3_225
; %bb.227:                              ;   in Loop: Header=BB3_226 Depth=1
	v_cmp_eq_f32_e64 s[6:7], v12, v11
	s_mov_b64 s[16:17], 0
	s_and_saveexec_b64 s[18:19], s[6:7]
	s_cbranch_execz .LBB3_224
; %bb.228:                              ;   in Loop: Header=BB3_226 Depth=1
	ds_read_b32 v10, v10 offset:4
	ds_read_b32 v9, v9 offset:4
	s_waitcnt lgkmcnt(0)
	v_cmp_lt_f32_e64 s[6:7], v10, v9
	s_and_b64 s[16:17], s[6:7], exec
	s_branch .LBB3_224
.LBB3_229:
	s_or_b64 exec, exec, s[10:11]
.LBB3_230:
	s_or_b64 exec, exec, s[8:9]
	v_add_u32_e32 v3, v3, v19
	v_sub_u32_e32 v10, v3, v8
	v_lshl_add_u32 v12, v10, 3, v20
	ds_read_b64 v[4:5], v12
	v_lshl_add_u32 v9, v8, 3, v6
	ds_read_b64 v[6:7], v9
	v_add_u32_e32 v11, v8, v2
	v_cmp_gt_i32_e64 s[6:7], v18, v10
	s_waitcnt lgkmcnt(1)
	v_mov_b32_e32 v2, v4
	v_mov_b32_e32 v3, v5
	s_mov_b64 s[10:11], 0
	s_and_saveexec_b64 s[12:13], s[6:7]
	s_cbranch_execz .LBB3_236
; %bb.231:
	v_cmp_gt_i32_e64 s[6:7], v19, v11
	s_waitcnt lgkmcnt(0)
	v_cmp_nlt_f32_e64 s[8:9], v4, v6
	s_and_b64 s[10:11], s[6:7], s[8:9]
	s_mov_b64 s[6:7], -1
	s_and_saveexec_b64 s[8:9], s[10:11]
	s_cbranch_execz .LBB3_235
; %bb.232:
	v_cmp_eq_f32_e64 s[6:7], v4, v6
	s_mov_b64 s[10:11], 0
	s_and_saveexec_b64 s[14:15], s[6:7]
; %bb.233:
	v_cmp_lt_f32_e64 s[6:7], v5, v7
	s_and_b64 s[10:11], s[6:7], exec
; %bb.234:
	s_or_b64 exec, exec, s[14:15]
	s_orn2_b64 s[6:7], s[10:11], exec
.LBB3_235:
	s_or_b64 exec, exec, s[8:9]
	s_and_b64 s[10:11], s[6:7], exec
.LBB3_236:
	s_or_b64 exec, exec, s[12:13]
	s_xor_b64 s[6:7], s[10:11], -1
                                        ; implicit-def: $vgpr8
	s_and_saveexec_b64 s[8:9], s[6:7]
	s_xor_b64 s[6:7], exec, s[8:9]
; %bb.237:
	ds_read_b64 v[8:9], v9 offset:8
                                        ; implicit-def: $vgpr12
; %bb.238:
	s_andn2_saveexec_b64 s[6:7], s[6:7]
	s_cbranch_execz .LBB3_240
; %bb.239:
	ds_read_b64 v[2:3], v12 offset:8
	s_waitcnt lgkmcnt(1)
	v_mov_b32_e32 v9, v7
	v_mov_b32_e32 v8, v6
.LBB3_240:
	s_or_b64 exec, exec, s[6:7]
	v_add_u32_e32 v12, 1, v10
	v_add_u32_e32 v13, 1, v11
	v_cndmask_b32_e64 v14, v10, v12, s[10:11]
	v_cndmask_b32_e64 v15, v13, v11, s[10:11]
	v_cmp_lt_i32_e64 s[6:7], v14, v18
	s_mov_b64 s[12:13], 0
	s_and_saveexec_b64 s[14:15], s[6:7]
	s_cbranch_execz .LBB3_246
; %bb.241:
	v_cmp_lt_i32_e64 s[6:7], v15, v19
	s_waitcnt lgkmcnt(0)
	v_cmp_nlt_f32_e64 s[8:9], v2, v8
	s_and_b64 s[12:13], s[6:7], s[8:9]
	s_mov_b64 s[6:7], -1
	s_and_saveexec_b64 s[8:9], s[12:13]
	s_cbranch_execz .LBB3_245
; %bb.242:
	v_cmp_eq_f32_e64 s[6:7], v2, v8
	s_mov_b64 s[12:13], 0
	s_and_saveexec_b64 s[16:17], s[6:7]
; %bb.243:
	v_cmp_lt_f32_e64 s[6:7], v3, v9
	s_and_b64 s[12:13], s[6:7], exec
; %bb.244:
	s_or_b64 exec, exec, s[16:17]
	s_orn2_b64 s[6:7], s[12:13], exec
.LBB3_245:
	s_or_b64 exec, exec, s[8:9]
	s_and_b64 s[12:13], s[6:7], exec
.LBB3_246:
	s_or_b64 exec, exec, s[14:15]
	s_xor_b64 s[6:7], s[12:13], -1
                                        ; implicit-def: $vgpr10
	s_and_saveexec_b64 s[8:9], s[6:7]
	s_xor_b64 s[6:7], exec, s[8:9]
; %bb.247:
	v_lshl_add_u32 v10, v15, 3, v20
	ds_read_b64 v[10:11], v10 offset:8
; %bb.248:
	s_or_saveexec_b64 s[6:7], s[6:7]
	s_waitcnt lgkmcnt(0)
	v_mov_b32_e32 v12, v2
	v_mov_b32_e32 v13, v3
	s_xor_b64 exec, exec, s[6:7]
; %bb.249:
	v_lshl_add_u32 v10, v14, 3, v20
	ds_read_b64 v[12:13], v10 offset:8
	v_mov_b32_e32 v11, v9
	v_mov_b32_e32 v10, v8
; %bb.250:
	s_or_b64 exec, exec, s[6:7]
	v_add_u32_e32 v16, 1, v14
	v_add_u32_e32 v17, 1, v15
	v_cndmask_b32_e64 v22, v14, v16, s[12:13]
	v_cndmask_b32_e64 v21, v17, v15, s[12:13]
	v_cmp_lt_i32_e64 s[6:7], v22, v18
	s_mov_b64 s[14:15], 0
	s_and_saveexec_b64 s[16:17], s[6:7]
	s_cbranch_execz .LBB3_256
; %bb.251:
	v_cmp_lt_i32_e64 s[6:7], v21, v19
	s_waitcnt lgkmcnt(0)
	v_cmp_nlt_f32_e64 s[8:9], v12, v10
	s_and_b64 s[14:15], s[6:7], s[8:9]
	s_mov_b64 s[6:7], -1
	s_and_saveexec_b64 s[8:9], s[14:15]
	s_cbranch_execz .LBB3_255
; %bb.252:
	v_cmp_eq_f32_e64 s[6:7], v12, v10
	s_mov_b64 s[14:15], 0
	s_and_saveexec_b64 s[18:19], s[6:7]
; %bb.253:
	v_cmp_lt_f32_e64 s[6:7], v13, v11
	s_and_b64 s[14:15], s[6:7], exec
; %bb.254:
	s_or_b64 exec, exec, s[18:19]
	s_orn2_b64 s[6:7], s[14:15], exec
.LBB3_255:
	s_or_b64 exec, exec, s[8:9]
	s_and_b64 s[14:15], s[6:7], exec
.LBB3_256:
	s_or_b64 exec, exec, s[16:17]
	s_xor_b64 s[6:7], s[14:15], -1
                                        ; implicit-def: $vgpr14
	s_and_saveexec_b64 s[8:9], s[6:7]
	s_xor_b64 s[6:7], exec, s[8:9]
; %bb.257:
	v_lshl_add_u32 v14, v21, 3, v20
	ds_read_b64 v[14:15], v14 offset:8
                                        ; implicit-def: $vgpr20
; %bb.258:
	s_or_saveexec_b64 s[6:7], s[6:7]
	s_waitcnt lgkmcnt(0)
	v_mov_b32_e32 v16, v12
	v_mov_b32_e32 v17, v13
	s_xor_b64 exec, exec, s[6:7]
; %bb.259:
	v_lshl_add_u32 v14, v22, 3, v20
	ds_read_b64 v[16:17], v14 offset:8
	v_mov_b32_e32 v15, v11
	v_mov_b32_e32 v14, v10
; %bb.260:
	s_or_b64 exec, exec, s[6:7]
	v_add_u32_e32 v20, 1, v22
	v_cndmask_b32_e64 v20, v22, v20, s[14:15]
	v_cmp_lt_i32_e64 s[6:7], v20, v18
	s_mov_b64 s[8:9], 0
	s_and_saveexec_b64 s[16:17], s[6:7]
	s_cbranch_execnz .LBB3_266
; %bb.261:
	s_or_b64 exec, exec, s[16:17]
	s_and_saveexec_b64 s[6:7], vcc
	s_cbranch_execnz .LBB3_271
.LBB3_262:
	s_or_b64 exec, exec, s[6:7]
	s_and_saveexec_b64 s[6:7], s[0:1]
	s_cbranch_execnz .LBB3_272
.LBB3_263:
	s_or_b64 exec, exec, s[6:7]
	s_and_saveexec_b64 s[0:1], s[2:3]
	s_cbranch_execnz .LBB3_273
.LBB3_264:
	s_or_b64 exec, exec, s[0:1]
	s_and_saveexec_b64 s[0:1], s[4:5]
	s_cbranch_execnz .LBB3_274
.LBB3_265:
	s_endpgm
.LBB3_266:
	v_add_u32_e32 v18, 1, v21
	v_cndmask_b32_e64 v18, v18, v21, s[14:15]
	v_cmp_lt_i32_e64 s[6:7], v18, v19
	s_waitcnt lgkmcnt(0)
	v_cmp_nlt_f32_e64 s[8:9], v16, v14
	s_and_b64 s[18:19], s[6:7], s[8:9]
	s_mov_b64 s[6:7], -1
	s_and_saveexec_b64 s[8:9], s[18:19]
	s_cbranch_execz .LBB3_270
; %bb.267:
	v_cmp_eq_f32_e64 s[6:7], v16, v14
	s_mov_b64 s[18:19], 0
	s_and_saveexec_b64 s[20:21], s[6:7]
; %bb.268:
	v_cmp_lt_f32_e64 s[6:7], v17, v15
	s_and_b64 s[18:19], s[6:7], exec
; %bb.269:
	s_or_b64 exec, exec, s[20:21]
	s_orn2_b64 s[6:7], s[18:19], exec
.LBB3_270:
	s_or_b64 exec, exec, s[8:9]
	s_and_b64 s[8:9], s[6:7], exec
	s_or_b64 exec, exec, s[16:17]
	s_and_saveexec_b64 s[6:7], vcc
	s_cbranch_execz .LBB3_262
.LBB3_271:
	v_cndmask_b32_e64 v4, v6, v4, s[10:11]
	v_cndmask_b32_e64 v5, v7, v5, s[10:11]
	global_store_dwordx2 v[0:1], v[4:5], off
	s_or_b64 exec, exec, s[6:7]
	s_and_saveexec_b64 s[6:7], s[0:1]
	s_cbranch_execz .LBB3_263
.LBB3_272:
	v_cndmask_b32_e64 v2, v8, v2, s[12:13]
	v_cndmask_b32_e64 v3, v9, v3, s[12:13]
	global_store_dwordx2 v[0:1], v[2:3], off offset:8
	s_or_b64 exec, exec, s[6:7]
	s_and_saveexec_b64 s[0:1], s[2:3]
	s_cbranch_execz .LBB3_264
.LBB3_273:
	v_cndmask_b32_e64 v2, v10, v12, s[14:15]
	v_cndmask_b32_e64 v3, v11, v13, s[14:15]
	global_store_dwordx2 v[0:1], v[2:3], off offset:16
	s_or_b64 exec, exec, s[0:1]
	s_and_saveexec_b64 s[0:1], s[4:5]
	s_cbranch_execz .LBB3_265
.LBB3_274:
	s_waitcnt lgkmcnt(0)
	v_cndmask_b32_e64 v2, v14, v16, s[8:9]
	v_cndmask_b32_e64 v3, v15, v17, s[8:9]
	global_store_dwordx2 v[0:1], v[2:3], off offset:24
	s_endpgm
	.section	.rodata,"a",@progbits
	.p2align	6, 0x0
	.amdhsa_kernel _Z19sort_keys_segmentedILj256ELj32ELj4ELb0EN10test_utils16custom_test_typeIfEENS0_4lessEEvPT3_PKjT4_
		.amdhsa_group_segment_fixed_size 8256
		.amdhsa_private_segment_fixed_size 0
		.amdhsa_kernarg_size 20
		.amdhsa_user_sgpr_count 6
		.amdhsa_user_sgpr_private_segment_buffer 1
		.amdhsa_user_sgpr_dispatch_ptr 0
		.amdhsa_user_sgpr_queue_ptr 0
		.amdhsa_user_sgpr_kernarg_segment_ptr 1
		.amdhsa_user_sgpr_dispatch_id 0
		.amdhsa_user_sgpr_flat_scratch_init 0
		.amdhsa_user_sgpr_private_segment_size 0
		.amdhsa_uses_dynamic_stack 0
		.amdhsa_system_sgpr_private_segment_wavefront_offset 0
		.amdhsa_system_sgpr_workgroup_id_x 1
		.amdhsa_system_sgpr_workgroup_id_y 0
		.amdhsa_system_sgpr_workgroup_id_z 0
		.amdhsa_system_sgpr_workgroup_info 0
		.amdhsa_system_vgpr_workitem_id 0
		.amdhsa_next_free_vgpr 33
		.amdhsa_next_free_sgpr 77
		.amdhsa_reserve_vcc 1
		.amdhsa_reserve_flat_scratch 0
		.amdhsa_float_round_mode_32 0
		.amdhsa_float_round_mode_16_64 0
		.amdhsa_float_denorm_mode_32 3
		.amdhsa_float_denorm_mode_16_64 3
		.amdhsa_dx10_clamp 1
		.amdhsa_ieee_mode 1
		.amdhsa_fp16_overflow 0
		.amdhsa_exception_fp_ieee_invalid_op 0
		.amdhsa_exception_fp_denorm_src 0
		.amdhsa_exception_fp_ieee_div_zero 0
		.amdhsa_exception_fp_ieee_overflow 0
		.amdhsa_exception_fp_ieee_underflow 0
		.amdhsa_exception_fp_ieee_inexact 0
		.amdhsa_exception_int_div_zero 0
	.end_amdhsa_kernel
	.section	.text._Z19sort_keys_segmentedILj256ELj32ELj4ELb0EN10test_utils16custom_test_typeIfEENS0_4lessEEvPT3_PKjT4_,"axG",@progbits,_Z19sort_keys_segmentedILj256ELj32ELj4ELb0EN10test_utils16custom_test_typeIfEENS0_4lessEEvPT3_PKjT4_,comdat
.Lfunc_end3:
	.size	_Z19sort_keys_segmentedILj256ELj32ELj4ELb0EN10test_utils16custom_test_typeIfEENS0_4lessEEvPT3_PKjT4_, .Lfunc_end3-_Z19sort_keys_segmentedILj256ELj32ELj4ELb0EN10test_utils16custom_test_typeIfEENS0_4lessEEvPT3_PKjT4_
                                        ; -- End function
	.set _Z19sort_keys_segmentedILj256ELj32ELj4ELb0EN10test_utils16custom_test_typeIfEENS0_4lessEEvPT3_PKjT4_.num_vgpr, 28
	.set _Z19sort_keys_segmentedILj256ELj32ELj4ELb0EN10test_utils16custom_test_typeIfEENS0_4lessEEvPT3_PKjT4_.num_agpr, 0
	.set _Z19sort_keys_segmentedILj256ELj32ELj4ELb0EN10test_utils16custom_test_typeIfEENS0_4lessEEvPT3_PKjT4_.numbered_sgpr, 22
	.set _Z19sort_keys_segmentedILj256ELj32ELj4ELb0EN10test_utils16custom_test_typeIfEENS0_4lessEEvPT3_PKjT4_.num_named_barrier, 0
	.set _Z19sort_keys_segmentedILj256ELj32ELj4ELb0EN10test_utils16custom_test_typeIfEENS0_4lessEEvPT3_PKjT4_.private_seg_size, 0
	.set _Z19sort_keys_segmentedILj256ELj32ELj4ELb0EN10test_utils16custom_test_typeIfEENS0_4lessEEvPT3_PKjT4_.uses_vcc, 1
	.set _Z19sort_keys_segmentedILj256ELj32ELj4ELb0EN10test_utils16custom_test_typeIfEENS0_4lessEEvPT3_PKjT4_.uses_flat_scratch, 0
	.set _Z19sort_keys_segmentedILj256ELj32ELj4ELb0EN10test_utils16custom_test_typeIfEENS0_4lessEEvPT3_PKjT4_.has_dyn_sized_stack, 0
	.set _Z19sort_keys_segmentedILj256ELj32ELj4ELb0EN10test_utils16custom_test_typeIfEENS0_4lessEEvPT3_PKjT4_.has_recursion, 0
	.set _Z19sort_keys_segmentedILj256ELj32ELj4ELb0EN10test_utils16custom_test_typeIfEENS0_4lessEEvPT3_PKjT4_.has_indirect_call, 0
	.section	.AMDGPU.csdata,"",@progbits
; Kernel info:
; codeLenInByte = 6996
; TotalNumSgprs: 26
; NumVgprs: 28
; ScratchSize: 0
; MemoryBound: 0
; FloatMode: 240
; IeeeMode: 1
; LDSByteSize: 8256 bytes/workgroup (compile time only)
; SGPRBlocks: 10
; VGPRBlocks: 8
; NumSGPRsForWavesPerEU: 81
; NumVGPRsForWavesPerEU: 33
; Occupancy: 7
; WaveLimiterHint : 0
; COMPUTE_PGM_RSRC2:SCRATCH_EN: 0
; COMPUTE_PGM_RSRC2:USER_SGPR: 6
; COMPUTE_PGM_RSRC2:TRAP_HANDLER: 0
; COMPUTE_PGM_RSRC2:TGID_X_EN: 1
; COMPUTE_PGM_RSRC2:TGID_Y_EN: 0
; COMPUTE_PGM_RSRC2:TGID_Z_EN: 0
; COMPUTE_PGM_RSRC2:TIDIG_COMP_CNT: 0
	.section	.text._Z19sort_keys_segmentedILj256ELj32ELj2ELb0EN10test_utils16custom_test_typeIfEENS0_4lessEEvPT3_PKjT4_,"axG",@progbits,_Z19sort_keys_segmentedILj256ELj32ELj2ELb0EN10test_utils16custom_test_typeIfEENS0_4lessEEvPT3_PKjT4_,comdat
	.protected	_Z19sort_keys_segmentedILj256ELj32ELj2ELb0EN10test_utils16custom_test_typeIfEENS0_4lessEEvPT3_PKjT4_ ; -- Begin function _Z19sort_keys_segmentedILj256ELj32ELj2ELb0EN10test_utils16custom_test_typeIfEENS0_4lessEEvPT3_PKjT4_
	.globl	_Z19sort_keys_segmentedILj256ELj32ELj2ELb0EN10test_utils16custom_test_typeIfEENS0_4lessEEvPT3_PKjT4_
	.p2align	8
	.type	_Z19sort_keys_segmentedILj256ELj32ELj2ELb0EN10test_utils16custom_test_typeIfEENS0_4lessEEvPT3_PKjT4_,@function
_Z19sort_keys_segmentedILj256ELj32ELj2ELb0EN10test_utils16custom_test_typeIfEENS0_4lessEEvPT3_PKjT4_: ; @_Z19sort_keys_segmentedILj256ELj32ELj2ELb0EN10test_utils16custom_test_typeIfEENS0_4lessEEvPT3_PKjT4_
; %bb.0:
	s_load_dwordx4 s[0:3], s[4:5], 0x0
	v_lshrrev_b32_e32 v6, 5, v0
	v_lshl_or_b32 v4, s6, 3, v6
	v_mov_b32_e32 v5, 0
	v_lshlrev_b64 v[0:1], 2, v[4:5]
	s_waitcnt lgkmcnt(0)
	v_mov_b32_e32 v2, s3
	v_add_co_u32_e32 v0, vcc, s2, v0
	v_addc_co_u32_e32 v1, vcc, v2, v1, vcc
	global_load_dword v10, v[0:1], off
	v_mbcnt_lo_u32_b32 v0, -1, 0
	v_mbcnt_hi_u32_b32 v0, -1, v0
	v_lshlrev_b32_e32 v4, 6, v4
	v_lshlrev_b32_e32 v14, 1, v0
	v_lshlrev_b64 v[0:1], 3, v[4:5]
	v_and_b32_e32 v11, 62, v14
	v_mov_b32_e32 v2, s1
	v_add_co_u32_e32 v0, vcc, s0, v0
	v_lshlrev_b32_e32 v7, 3, v11
	v_addc_co_u32_e32 v1, vcc, v2, v1, vcc
	v_add_co_u32_e32 v0, vcc, v0, v7
	v_addc_co_u32_e32 v1, vcc, 0, v1, vcc
	v_mov_b32_e32 v3, 0
	v_mov_b32_e32 v2, 0
	s_waitcnt vmcnt(0)
	v_cmp_lt_u32_e32 vcc, v11, v10
	s_and_saveexec_b64 s[0:1], vcc
	s_cbranch_execz .LBB4_2
; %bb.1:
	global_load_dwordx2 v[2:3], v[0:1], off
.LBB4_2:
	s_or_b64 exec, exec, s[0:1]
	v_or_b32_e32 v8, 1, v11
	v_cmp_lt_u32_e64 s[0:1], v8, v10
	v_mov_b32_e32 v4, 0
	s_and_saveexec_b64 s[2:3], s[0:1]
	s_cbranch_execz .LBB4_4
; %bb.3:
	global_load_dwordx2 v[4:5], v[0:1], off offset:8
.LBB4_4:
	s_or_b64 exec, exec, s[2:3]
	s_getpc_b64 s[2:3]
	s_add_u32 s2, s2, _ZN9sort_lastIN10test_utils4lessENS0_16custom_test_typeIfEEE5valueE@rel32@lo+4
	s_addc_u32 s3, s3, _ZN9sort_lastIN10test_utils4lessENS0_16custom_test_typeIfEEE5valueE@rel32@hi+12
	s_load_dwordx2 s[4:5], s[2:3], 0x0
	v_cmp_lt_i32_e64 s[2:3], v8, v10
	s_waitcnt lgkmcnt(0)
	v_mov_b32_e32 v9, s5
	v_mov_b32_e32 v12, s4
	s_waitcnt vmcnt(0)
	v_cndmask_b32_e64 v5, v9, v5, s[2:3]
	v_cndmask_b32_e64 v4, v12, v4, s[2:3]
	v_cmp_lt_i32_e64 s[2:3], v11, v10
	s_and_saveexec_b64 s[6:7], s[2:3]
	s_cbranch_execz .LBB4_10
; %bb.5:
	v_cmp_lt_f32_e64 s[8:9], v4, v2
	v_cmp_nlt_f32_e64 s[2:3], v4, v2
	s_and_saveexec_b64 s[10:11], s[2:3]
; %bb.6:
	v_cmp_eq_f32_e64 s[2:3], v4, v2
	v_cmp_lt_f32_e64 s[4:5], v5, v3
	s_and_b64 s[2:3], s[2:3], s[4:5]
	s_andn2_b64 s[4:5], s[8:9], exec
	s_and_b64 s[2:3], s[2:3], exec
	s_or_b64 s[8:9], s[4:5], s[2:3]
; %bb.7:
	s_or_b64 exec, exec, s[10:11]
	v_mov_b32_e32 v8, v2
	v_mov_b32_e32 v9, v3
	s_and_saveexec_b64 s[2:3], s[8:9]
; %bb.8:
	v_mov_b32_e32 v8, v4
	v_mov_b32_e32 v9, v5
	;; [unrolled: 1-line block ×4, first 2 shown]
; %bb.9:
	s_or_b64 exec, exec, s[2:3]
	v_mov_b32_e32 v3, v9
	v_mov_b32_e32 v2, v8
.LBB4_10:
	s_or_b64 exec, exec, s[6:7]
	s_movk_i32 s2, 0x208
	v_mad_u32_u24 v13, v6, s2, v7
	; wave barrier
	ds_write2_b64 v13, v[2:3], v[4:5] offset1:1
	v_and_b32_e32 v3, 60, v14
	v_min_i32_e32 v7, v10, v3
	v_add_u32_e32 v3, 2, v7
	v_min_i32_e32 v15, v10, v3
	v_add_u32_e32 v3, 2, v15
	v_and_b32_e32 v2, 2, v14
	v_min_i32_e32 v16, v10, v3
	v_min_i32_e32 v2, v10, v2
	v_sub_u32_e32 v5, v16, v15
	v_lshlrev_b32_e32 v4, 3, v7
	v_mul_u32_u24_e32 v12, 0x208, v6
	v_sub_u32_e32 v3, v15, v7
	v_mad_u32_u24 v4, v6, s2, v4
	v_sub_u32_e32 v6, v2, v5
	v_cmp_ge_i32_e64 s[2:3], v2, v5
	v_cndmask_b32_e64 v6, 0, v6, s[2:3]
	v_min_i32_e32 v3, v2, v3
	v_cmp_lt_i32_e64 s[2:3], v6, v3
	; wave barrier
	s_and_saveexec_b64 s[4:5], s[2:3]
	s_cbranch_execz .LBB4_18
; %bb.11:
	v_lshlrev_b32_e32 v5, 3, v15
	v_lshlrev_b32_e32 v8, 3, v2
	v_add3_u32 v5, v12, v5, v8
	s_mov_b64 s[6:7], 0
                                        ; implicit-def: $sgpr8_sgpr9
	s_branch .LBB4_14
.LBB4_12:                               ;   in Loop: Header=BB4_14 Depth=1
	s_or_b64 exec, exec, s[14:15]
	s_andn2_b64 s[2:3], s[8:9], exec
	s_and_b64 s[8:9], s[12:13], exec
	s_or_b64 s[8:9], s[2:3], s[8:9]
.LBB4_13:                               ;   in Loop: Header=BB4_14 Depth=1
	s_or_b64 exec, exec, s[10:11]
	v_add_u32_e32 v9, 1, v8
	v_cndmask_b32_e64 v3, v3, v8, s[8:9]
	v_cndmask_b32_e64 v6, v9, v6, s[8:9]
	v_cmp_ge_i32_e64 s[2:3], v6, v3
	s_or_b64 s[6:7], s[2:3], s[6:7]
	s_andn2_b64 exec, exec, s[6:7]
	s_cbranch_execz .LBB4_17
.LBB4_14:                               ; =>This Inner Loop Header: Depth=1
	v_sub_u32_e32 v8, v3, v6
	v_lshrrev_b32_e32 v8, 1, v8
	v_add_u32_e32 v8, v8, v6
	v_lshl_add_u32 v9, v8, 3, v4
	v_not_b32_e32 v17, v8
	v_lshl_add_u32 v17, v17, 3, v5
	ds_read_b32 v18, v9
	ds_read_b32 v19, v17
	s_or_b64 s[8:9], s[8:9], exec
	s_waitcnt lgkmcnt(0)
	v_cmp_nlt_f32_e64 s[2:3], v19, v18
	s_and_saveexec_b64 s[10:11], s[2:3]
	s_cbranch_execz .LBB4_13
; %bb.15:                               ;   in Loop: Header=BB4_14 Depth=1
	v_cmp_eq_f32_e64 s[2:3], v19, v18
	s_mov_b64 s[12:13], 0
	s_and_saveexec_b64 s[14:15], s[2:3]
	s_cbranch_execz .LBB4_12
; %bb.16:                               ;   in Loop: Header=BB4_14 Depth=1
	ds_read_b32 v17, v17 offset:4
	ds_read_b32 v9, v9 offset:4
	s_waitcnt lgkmcnt(0)
	v_cmp_lt_f32_e64 s[2:3], v17, v9
	s_and_b64 s[12:13], s[2:3], exec
	s_branch .LBB4_12
.LBB4_17:
	s_or_b64 exec, exec, s[6:7]
.LBB4_18:
	s_or_b64 exec, exec, s[4:5]
	v_add_u32_e32 v2, v15, v2
	v_sub_u32_e32 v18, v2, v6
	v_lshl_add_u32 v19, v18, 3, v12
	ds_read_b64 v[2:3], v19
	v_lshl_add_u32 v9, v6, 3, v4
	ds_read_b64 v[4:5], v9
	v_add_u32_e32 v17, v6, v7
	v_cmp_gt_i32_e64 s[2:3], v16, v18
	s_waitcnt lgkmcnt(1)
	v_mov_b32_e32 v6, v2
	v_mov_b32_e32 v7, v3
	s_mov_b64 s[6:7], 0
	s_and_saveexec_b64 s[8:9], s[2:3]
	s_cbranch_execz .LBB4_24
; %bb.19:
	v_cmp_gt_i32_e64 s[2:3], v15, v17
	s_waitcnt lgkmcnt(0)
	v_cmp_nlt_f32_e64 s[4:5], v2, v4
	s_and_b64 s[6:7], s[2:3], s[4:5]
	s_mov_b64 s[2:3], -1
	s_and_saveexec_b64 s[4:5], s[6:7]
	s_cbranch_execz .LBB4_23
; %bb.20:
	v_cmp_eq_f32_e64 s[2:3], v2, v4
	s_mov_b64 s[6:7], 0
	s_and_saveexec_b64 s[10:11], s[2:3]
; %bb.21:
	v_cmp_lt_f32_e64 s[2:3], v3, v5
	s_and_b64 s[6:7], s[2:3], exec
; %bb.22:
	s_or_b64 exec, exec, s[10:11]
	s_orn2_b64 s[2:3], s[6:7], exec
.LBB4_23:
	s_or_b64 exec, exec, s[4:5]
	s_and_b64 s[6:7], s[2:3], exec
.LBB4_24:
	s_or_b64 exec, exec, s[8:9]
	s_xor_b64 s[2:3], s[6:7], -1
                                        ; implicit-def: $vgpr8
	s_and_saveexec_b64 s[4:5], s[2:3]
	s_xor_b64 s[2:3], exec, s[4:5]
; %bb.25:
	ds_read_b64 v[8:9], v9 offset:8
                                        ; implicit-def: $vgpr19
; %bb.26:
	s_andn2_saveexec_b64 s[2:3], s[2:3]
	s_cbranch_execz .LBB4_28
; %bb.27:
	ds_read_b64 v[6:7], v19 offset:8
	s_waitcnt lgkmcnt(1)
	v_mov_b32_e32 v9, v5
	v_mov_b32_e32 v8, v4
.LBB4_28:
	s_or_b64 exec, exec, s[2:3]
	v_add_u32_e32 v19, 1, v18
	v_cndmask_b32_e64 v18, v18, v19, s[6:7]
	v_cmp_lt_i32_e64 s[2:3], v18, v16
	s_mov_b64 s[4:5], 0
	s_and_saveexec_b64 s[8:9], s[2:3]
	s_cbranch_execz .LBB4_34
; %bb.29:
	v_add_u32_e32 v16, 1, v17
	v_cndmask_b32_e64 v16, v16, v17, s[6:7]
	v_cmp_lt_i32_e64 s[2:3], v16, v15
	s_waitcnt lgkmcnt(0)
	v_cmp_nlt_f32_e64 s[4:5], v6, v8
	s_and_b64 s[10:11], s[2:3], s[4:5]
	s_mov_b64 s[2:3], -1
	s_and_saveexec_b64 s[4:5], s[10:11]
	s_cbranch_execz .LBB4_33
; %bb.30:
	v_cmp_eq_f32_e64 s[2:3], v6, v8
	s_mov_b64 s[10:11], 0
	s_and_saveexec_b64 s[12:13], s[2:3]
; %bb.31:
	v_cmp_lt_f32_e64 s[2:3], v7, v9
	s_and_b64 s[10:11], s[2:3], exec
; %bb.32:
	s_or_b64 exec, exec, s[12:13]
	s_orn2_b64 s[2:3], s[10:11], exec
.LBB4_33:
	s_or_b64 exec, exec, s[4:5]
	s_and_b64 s[4:5], s[2:3], exec
.LBB4_34:
	s_or_b64 exec, exec, s[8:9]
	s_waitcnt lgkmcnt(0)
	v_cndmask_b32_e64 v2, v4, v2, s[6:7]
	v_cndmask_b32_e64 v3, v5, v3, s[6:7]
	;; [unrolled: 1-line block ×4, first 2 shown]
	; wave barrier
	ds_write2_b64 v13, v[2:3], v[4:5] offset1:1
	v_and_b32_e32 v3, 56, v14
	v_min_i32_e32 v6, v10, v3
	v_add_u32_e32 v3, 4, v6
	v_min_i32_e32 v15, v10, v3
	v_add_u32_e32 v3, 4, v15
	v_and_b32_e32 v2, 6, v14
	v_min_i32_e32 v16, v10, v3
	v_min_i32_e32 v2, v10, v2
	v_sub_u32_e32 v5, v16, v15
	v_sub_u32_e32 v3, v15, v6
	;; [unrolled: 1-line block ×3, first 2 shown]
	v_cmp_ge_i32_e64 s[2:3], v2, v5
	v_cndmask_b32_e64 v7, 0, v7, s[2:3]
	v_min_i32_e32 v3, v2, v3
	v_lshl_add_u32 v4, v6, 3, v12
	v_cmp_lt_i32_e64 s[2:3], v7, v3
	; wave barrier
	s_and_saveexec_b64 s[4:5], s[2:3]
	s_cbranch_execz .LBB4_42
; %bb.35:
	v_lshlrev_b32_e32 v5, 3, v15
	v_lshlrev_b32_e32 v8, 3, v2
	v_add3_u32 v5, v12, v5, v8
	s_mov_b64 s[6:7], 0
                                        ; implicit-def: $sgpr8_sgpr9
	s_branch .LBB4_38
.LBB4_36:                               ;   in Loop: Header=BB4_38 Depth=1
	s_or_b64 exec, exec, s[14:15]
	s_andn2_b64 s[2:3], s[8:9], exec
	s_and_b64 s[8:9], s[12:13], exec
	s_or_b64 s[8:9], s[2:3], s[8:9]
.LBB4_37:                               ;   in Loop: Header=BB4_38 Depth=1
	s_or_b64 exec, exec, s[10:11]
	v_add_u32_e32 v9, 1, v8
	v_cndmask_b32_e64 v3, v3, v8, s[8:9]
	v_cndmask_b32_e64 v7, v9, v7, s[8:9]
	v_cmp_ge_i32_e64 s[2:3], v7, v3
	s_or_b64 s[6:7], s[2:3], s[6:7]
	s_andn2_b64 exec, exec, s[6:7]
	s_cbranch_execz .LBB4_41
.LBB4_38:                               ; =>This Inner Loop Header: Depth=1
	v_sub_u32_e32 v8, v3, v7
	v_lshrrev_b32_e32 v8, 1, v8
	v_add_u32_e32 v8, v8, v7
	v_lshl_add_u32 v9, v8, 3, v4
	v_not_b32_e32 v17, v8
	v_lshl_add_u32 v17, v17, 3, v5
	ds_read_b32 v18, v9
	ds_read_b32 v19, v17
	s_or_b64 s[8:9], s[8:9], exec
	s_waitcnt lgkmcnt(0)
	v_cmp_nlt_f32_e64 s[2:3], v19, v18
	s_and_saveexec_b64 s[10:11], s[2:3]
	s_cbranch_execz .LBB4_37
; %bb.39:                               ;   in Loop: Header=BB4_38 Depth=1
	v_cmp_eq_f32_e64 s[2:3], v19, v18
	s_mov_b64 s[12:13], 0
	s_and_saveexec_b64 s[14:15], s[2:3]
	s_cbranch_execz .LBB4_36
; %bb.40:                               ;   in Loop: Header=BB4_38 Depth=1
	ds_read_b32 v17, v17 offset:4
	ds_read_b32 v9, v9 offset:4
	s_waitcnt lgkmcnt(0)
	v_cmp_lt_f32_e64 s[2:3], v17, v9
	s_and_b64 s[12:13], s[2:3], exec
	s_branch .LBB4_36
.LBB4_41:
	s_or_b64 exec, exec, s[6:7]
.LBB4_42:
	s_or_b64 exec, exec, s[4:5]
	v_add_u32_e32 v2, v15, v2
	v_sub_u32_e32 v18, v2, v7
	v_lshl_add_u32 v19, v18, 3, v12
	ds_read_b64 v[2:3], v19
	v_lshl_add_u32 v9, v7, 3, v4
	ds_read_b64 v[4:5], v9
	v_add_u32_e32 v17, v7, v6
	v_cmp_gt_i32_e64 s[2:3], v16, v18
	s_waitcnt lgkmcnt(1)
	v_mov_b32_e32 v6, v2
	v_mov_b32_e32 v7, v3
	s_mov_b64 s[6:7], 0
	s_and_saveexec_b64 s[8:9], s[2:3]
	s_cbranch_execz .LBB4_48
; %bb.43:
	v_cmp_gt_i32_e64 s[2:3], v15, v17
	s_waitcnt lgkmcnt(0)
	v_cmp_nlt_f32_e64 s[4:5], v2, v4
	s_and_b64 s[6:7], s[2:3], s[4:5]
	s_mov_b64 s[2:3], -1
	s_and_saveexec_b64 s[4:5], s[6:7]
	s_cbranch_execz .LBB4_47
; %bb.44:
	v_cmp_eq_f32_e64 s[2:3], v2, v4
	s_mov_b64 s[6:7], 0
	s_and_saveexec_b64 s[10:11], s[2:3]
; %bb.45:
	v_cmp_lt_f32_e64 s[2:3], v3, v5
	s_and_b64 s[6:7], s[2:3], exec
; %bb.46:
	s_or_b64 exec, exec, s[10:11]
	s_orn2_b64 s[2:3], s[6:7], exec
.LBB4_47:
	s_or_b64 exec, exec, s[4:5]
	s_and_b64 s[6:7], s[2:3], exec
.LBB4_48:
	s_or_b64 exec, exec, s[8:9]
	s_xor_b64 s[2:3], s[6:7], -1
                                        ; implicit-def: $vgpr8
	s_and_saveexec_b64 s[4:5], s[2:3]
	s_xor_b64 s[2:3], exec, s[4:5]
; %bb.49:
	ds_read_b64 v[8:9], v9 offset:8
                                        ; implicit-def: $vgpr19
; %bb.50:
	s_andn2_saveexec_b64 s[2:3], s[2:3]
	s_cbranch_execz .LBB4_52
; %bb.51:
	ds_read_b64 v[6:7], v19 offset:8
	s_waitcnt lgkmcnt(1)
	v_mov_b32_e32 v9, v5
	v_mov_b32_e32 v8, v4
.LBB4_52:
	s_or_b64 exec, exec, s[2:3]
	v_add_u32_e32 v19, 1, v18
	v_cndmask_b32_e64 v18, v18, v19, s[6:7]
	v_cmp_lt_i32_e64 s[2:3], v18, v16
	s_mov_b64 s[4:5], 0
	s_and_saveexec_b64 s[8:9], s[2:3]
	s_cbranch_execz .LBB4_58
; %bb.53:
	v_add_u32_e32 v16, 1, v17
	v_cndmask_b32_e64 v16, v16, v17, s[6:7]
	v_cmp_lt_i32_e64 s[2:3], v16, v15
	s_waitcnt lgkmcnt(0)
	v_cmp_nlt_f32_e64 s[4:5], v6, v8
	s_and_b64 s[10:11], s[2:3], s[4:5]
	s_mov_b64 s[2:3], -1
	s_and_saveexec_b64 s[4:5], s[10:11]
	s_cbranch_execz .LBB4_57
; %bb.54:
	v_cmp_eq_f32_e64 s[2:3], v6, v8
	s_mov_b64 s[10:11], 0
	s_and_saveexec_b64 s[12:13], s[2:3]
; %bb.55:
	v_cmp_lt_f32_e64 s[2:3], v7, v9
	s_and_b64 s[10:11], s[2:3], exec
; %bb.56:
	s_or_b64 exec, exec, s[12:13]
	s_orn2_b64 s[2:3], s[10:11], exec
.LBB4_57:
	s_or_b64 exec, exec, s[4:5]
	s_and_b64 s[4:5], s[2:3], exec
.LBB4_58:
	s_or_b64 exec, exec, s[8:9]
	s_waitcnt lgkmcnt(0)
	v_cndmask_b32_e64 v2, v4, v2, s[6:7]
	v_cndmask_b32_e64 v3, v5, v3, s[6:7]
	;; [unrolled: 1-line block ×4, first 2 shown]
	; wave barrier
	ds_write2_b64 v13, v[2:3], v[4:5] offset1:1
	v_and_b32_e32 v3, 48, v14
	v_min_i32_e32 v6, v10, v3
	v_add_u32_e32 v3, 8, v6
	v_min_i32_e32 v15, v10, v3
	v_add_u32_e32 v3, 8, v15
	v_and_b32_e32 v2, 14, v14
	v_min_i32_e32 v16, v10, v3
	v_min_i32_e32 v2, v10, v2
	v_sub_u32_e32 v5, v16, v15
	v_sub_u32_e32 v3, v15, v6
	;; [unrolled: 1-line block ×3, first 2 shown]
	v_cmp_ge_i32_e64 s[2:3], v2, v5
	v_cndmask_b32_e64 v7, 0, v7, s[2:3]
	v_min_i32_e32 v3, v2, v3
	v_lshl_add_u32 v4, v6, 3, v12
	v_cmp_lt_i32_e64 s[2:3], v7, v3
	; wave barrier
	s_and_saveexec_b64 s[4:5], s[2:3]
	s_cbranch_execz .LBB4_66
; %bb.59:
	v_lshlrev_b32_e32 v5, 3, v15
	v_lshlrev_b32_e32 v8, 3, v2
	v_add3_u32 v5, v12, v5, v8
	s_mov_b64 s[6:7], 0
                                        ; implicit-def: $sgpr8_sgpr9
	s_branch .LBB4_62
.LBB4_60:                               ;   in Loop: Header=BB4_62 Depth=1
	s_or_b64 exec, exec, s[14:15]
	s_andn2_b64 s[2:3], s[8:9], exec
	s_and_b64 s[8:9], s[12:13], exec
	s_or_b64 s[8:9], s[2:3], s[8:9]
.LBB4_61:                               ;   in Loop: Header=BB4_62 Depth=1
	s_or_b64 exec, exec, s[10:11]
	v_add_u32_e32 v9, 1, v8
	v_cndmask_b32_e64 v3, v3, v8, s[8:9]
	v_cndmask_b32_e64 v7, v9, v7, s[8:9]
	v_cmp_ge_i32_e64 s[2:3], v7, v3
	s_or_b64 s[6:7], s[2:3], s[6:7]
	s_andn2_b64 exec, exec, s[6:7]
	s_cbranch_execz .LBB4_65
.LBB4_62:                               ; =>This Inner Loop Header: Depth=1
	v_sub_u32_e32 v8, v3, v7
	v_lshrrev_b32_e32 v8, 1, v8
	v_add_u32_e32 v8, v8, v7
	v_lshl_add_u32 v9, v8, 3, v4
	v_not_b32_e32 v17, v8
	v_lshl_add_u32 v17, v17, 3, v5
	ds_read_b32 v18, v9
	ds_read_b32 v19, v17
	s_or_b64 s[8:9], s[8:9], exec
	s_waitcnt lgkmcnt(0)
	v_cmp_nlt_f32_e64 s[2:3], v19, v18
	s_and_saveexec_b64 s[10:11], s[2:3]
	s_cbranch_execz .LBB4_61
; %bb.63:                               ;   in Loop: Header=BB4_62 Depth=1
	v_cmp_eq_f32_e64 s[2:3], v19, v18
	s_mov_b64 s[12:13], 0
	s_and_saveexec_b64 s[14:15], s[2:3]
	s_cbranch_execz .LBB4_60
; %bb.64:                               ;   in Loop: Header=BB4_62 Depth=1
	ds_read_b32 v17, v17 offset:4
	ds_read_b32 v9, v9 offset:4
	s_waitcnt lgkmcnt(0)
	v_cmp_lt_f32_e64 s[2:3], v17, v9
	s_and_b64 s[12:13], s[2:3], exec
	s_branch .LBB4_60
.LBB4_65:
	s_or_b64 exec, exec, s[6:7]
.LBB4_66:
	s_or_b64 exec, exec, s[4:5]
	v_add_u32_e32 v2, v15, v2
	v_sub_u32_e32 v18, v2, v7
	v_lshl_add_u32 v19, v18, 3, v12
	ds_read_b64 v[2:3], v19
	v_lshl_add_u32 v9, v7, 3, v4
	ds_read_b64 v[4:5], v9
	v_add_u32_e32 v17, v7, v6
	v_cmp_gt_i32_e64 s[2:3], v16, v18
	s_waitcnt lgkmcnt(1)
	v_mov_b32_e32 v6, v2
	v_mov_b32_e32 v7, v3
	s_mov_b64 s[6:7], 0
	s_and_saveexec_b64 s[8:9], s[2:3]
	s_cbranch_execz .LBB4_72
; %bb.67:
	v_cmp_gt_i32_e64 s[2:3], v15, v17
	s_waitcnt lgkmcnt(0)
	v_cmp_nlt_f32_e64 s[4:5], v2, v4
	s_and_b64 s[6:7], s[2:3], s[4:5]
	s_mov_b64 s[2:3], -1
	s_and_saveexec_b64 s[4:5], s[6:7]
	s_cbranch_execz .LBB4_71
; %bb.68:
	v_cmp_eq_f32_e64 s[2:3], v2, v4
	s_mov_b64 s[6:7], 0
	s_and_saveexec_b64 s[10:11], s[2:3]
; %bb.69:
	v_cmp_lt_f32_e64 s[2:3], v3, v5
	s_and_b64 s[6:7], s[2:3], exec
; %bb.70:
	s_or_b64 exec, exec, s[10:11]
	s_orn2_b64 s[2:3], s[6:7], exec
.LBB4_71:
	s_or_b64 exec, exec, s[4:5]
	s_and_b64 s[6:7], s[2:3], exec
.LBB4_72:
	s_or_b64 exec, exec, s[8:9]
	s_xor_b64 s[2:3], s[6:7], -1
                                        ; implicit-def: $vgpr8
	s_and_saveexec_b64 s[4:5], s[2:3]
	s_xor_b64 s[2:3], exec, s[4:5]
; %bb.73:
	ds_read_b64 v[8:9], v9 offset:8
                                        ; implicit-def: $vgpr19
; %bb.74:
	s_andn2_saveexec_b64 s[2:3], s[2:3]
	s_cbranch_execz .LBB4_76
; %bb.75:
	ds_read_b64 v[6:7], v19 offset:8
	s_waitcnt lgkmcnt(1)
	v_mov_b32_e32 v9, v5
	v_mov_b32_e32 v8, v4
.LBB4_76:
	s_or_b64 exec, exec, s[2:3]
	v_add_u32_e32 v19, 1, v18
	v_cndmask_b32_e64 v18, v18, v19, s[6:7]
	v_cmp_lt_i32_e64 s[2:3], v18, v16
	s_mov_b64 s[4:5], 0
	s_and_saveexec_b64 s[8:9], s[2:3]
	s_cbranch_execz .LBB4_82
; %bb.77:
	v_add_u32_e32 v16, 1, v17
	v_cndmask_b32_e64 v16, v16, v17, s[6:7]
	v_cmp_lt_i32_e64 s[2:3], v16, v15
	s_waitcnt lgkmcnt(0)
	v_cmp_nlt_f32_e64 s[4:5], v6, v8
	s_and_b64 s[10:11], s[2:3], s[4:5]
	s_mov_b64 s[2:3], -1
	s_and_saveexec_b64 s[4:5], s[10:11]
	s_cbranch_execz .LBB4_81
; %bb.78:
	v_cmp_eq_f32_e64 s[2:3], v6, v8
	s_mov_b64 s[10:11], 0
	s_and_saveexec_b64 s[12:13], s[2:3]
; %bb.79:
	v_cmp_lt_f32_e64 s[2:3], v7, v9
	s_and_b64 s[10:11], s[2:3], exec
; %bb.80:
	s_or_b64 exec, exec, s[12:13]
	s_orn2_b64 s[2:3], s[10:11], exec
.LBB4_81:
	s_or_b64 exec, exec, s[4:5]
	s_and_b64 s[4:5], s[2:3], exec
.LBB4_82:
	s_or_b64 exec, exec, s[8:9]
	s_waitcnt lgkmcnt(0)
	v_cndmask_b32_e64 v2, v4, v2, s[6:7]
	v_cndmask_b32_e64 v3, v5, v3, s[6:7]
	;; [unrolled: 1-line block ×4, first 2 shown]
	; wave barrier
	ds_write2_b64 v13, v[2:3], v[4:5] offset1:1
	v_and_b32_e32 v3, 32, v14
	v_min_i32_e32 v6, v10, v3
	v_add_u32_e32 v3, 16, v6
	v_and_b32_e32 v2, 30, v14
	v_min_i32_e32 v14, v10, v3
	v_add_u32_e32 v3, 16, v14
	v_min_i32_e32 v15, v10, v3
	v_min_i32_e32 v2, v10, v2
	v_sub_u32_e32 v5, v15, v14
	v_sub_u32_e32 v3, v14, v6
	;; [unrolled: 1-line block ×3, first 2 shown]
	v_cmp_ge_i32_e64 s[2:3], v2, v5
	v_cndmask_b32_e64 v7, 0, v7, s[2:3]
	v_min_i32_e32 v3, v2, v3
	v_lshl_add_u32 v4, v6, 3, v12
	v_cmp_lt_i32_e64 s[2:3], v7, v3
	; wave barrier
	s_and_saveexec_b64 s[4:5], s[2:3]
	s_cbranch_execz .LBB4_90
; %bb.83:
	v_lshlrev_b32_e32 v5, 3, v14
	v_lshlrev_b32_e32 v8, 3, v2
	v_add3_u32 v5, v12, v5, v8
	s_mov_b64 s[6:7], 0
                                        ; implicit-def: $sgpr8_sgpr9
	s_branch .LBB4_86
.LBB4_84:                               ;   in Loop: Header=BB4_86 Depth=1
	s_or_b64 exec, exec, s[14:15]
	s_andn2_b64 s[2:3], s[8:9], exec
	s_and_b64 s[8:9], s[12:13], exec
	s_or_b64 s[8:9], s[2:3], s[8:9]
.LBB4_85:                               ;   in Loop: Header=BB4_86 Depth=1
	s_or_b64 exec, exec, s[10:11]
	v_add_u32_e32 v9, 1, v8
	v_cndmask_b32_e64 v3, v3, v8, s[8:9]
	v_cndmask_b32_e64 v7, v9, v7, s[8:9]
	v_cmp_ge_i32_e64 s[2:3], v7, v3
	s_or_b64 s[6:7], s[2:3], s[6:7]
	s_andn2_b64 exec, exec, s[6:7]
	s_cbranch_execz .LBB4_89
.LBB4_86:                               ; =>This Inner Loop Header: Depth=1
	v_sub_u32_e32 v8, v3, v7
	v_lshrrev_b32_e32 v8, 1, v8
	v_add_u32_e32 v8, v8, v7
	v_lshl_add_u32 v9, v8, 3, v4
	v_not_b32_e32 v16, v8
	v_lshl_add_u32 v16, v16, 3, v5
	ds_read_b32 v17, v9
	ds_read_b32 v18, v16
	s_or_b64 s[8:9], s[8:9], exec
	s_waitcnt lgkmcnt(0)
	v_cmp_nlt_f32_e64 s[2:3], v18, v17
	s_and_saveexec_b64 s[10:11], s[2:3]
	s_cbranch_execz .LBB4_85
; %bb.87:                               ;   in Loop: Header=BB4_86 Depth=1
	v_cmp_eq_f32_e64 s[2:3], v18, v17
	s_mov_b64 s[12:13], 0
	s_and_saveexec_b64 s[14:15], s[2:3]
	s_cbranch_execz .LBB4_84
; %bb.88:                               ;   in Loop: Header=BB4_86 Depth=1
	ds_read_b32 v16, v16 offset:4
	ds_read_b32 v9, v9 offset:4
	s_waitcnt lgkmcnt(0)
	v_cmp_lt_f32_e64 s[2:3], v16, v9
	s_and_b64 s[12:13], s[2:3], exec
	s_branch .LBB4_84
.LBB4_89:
	s_or_b64 exec, exec, s[6:7]
.LBB4_90:
	s_or_b64 exec, exec, s[4:5]
	v_add_u32_e32 v2, v14, v2
	v_sub_u32_e32 v17, v2, v7
	v_lshl_add_u32 v18, v17, 3, v12
	ds_read_b64 v[2:3], v18
	v_lshl_add_u32 v9, v7, 3, v4
	ds_read_b64 v[4:5], v9
	v_add_u32_e32 v16, v7, v6
	v_cmp_gt_i32_e64 s[2:3], v15, v17
	s_waitcnt lgkmcnt(1)
	v_mov_b32_e32 v6, v2
	v_mov_b32_e32 v7, v3
	s_mov_b64 s[6:7], 0
	s_and_saveexec_b64 s[8:9], s[2:3]
	s_cbranch_execz .LBB4_96
; %bb.91:
	v_cmp_gt_i32_e64 s[2:3], v14, v16
	s_waitcnt lgkmcnt(0)
	v_cmp_nlt_f32_e64 s[4:5], v2, v4
	s_and_b64 s[6:7], s[2:3], s[4:5]
	s_mov_b64 s[2:3], -1
	s_and_saveexec_b64 s[4:5], s[6:7]
	s_cbranch_execz .LBB4_95
; %bb.92:
	v_cmp_eq_f32_e64 s[2:3], v2, v4
	s_mov_b64 s[6:7], 0
	s_and_saveexec_b64 s[10:11], s[2:3]
; %bb.93:
	v_cmp_lt_f32_e64 s[2:3], v3, v5
	s_and_b64 s[6:7], s[2:3], exec
; %bb.94:
	s_or_b64 exec, exec, s[10:11]
	s_orn2_b64 s[2:3], s[6:7], exec
.LBB4_95:
	s_or_b64 exec, exec, s[4:5]
	s_and_b64 s[6:7], s[2:3], exec
.LBB4_96:
	s_or_b64 exec, exec, s[8:9]
	s_xor_b64 s[2:3], s[6:7], -1
                                        ; implicit-def: $vgpr8
	s_and_saveexec_b64 s[4:5], s[2:3]
	s_xor_b64 s[2:3], exec, s[4:5]
; %bb.97:
	ds_read_b64 v[8:9], v9 offset:8
                                        ; implicit-def: $vgpr18
; %bb.98:
	s_andn2_saveexec_b64 s[2:3], s[2:3]
	s_cbranch_execz .LBB4_100
; %bb.99:
	ds_read_b64 v[6:7], v18 offset:8
	s_waitcnt lgkmcnt(1)
	v_mov_b32_e32 v9, v5
	v_mov_b32_e32 v8, v4
.LBB4_100:
	s_or_b64 exec, exec, s[2:3]
	v_add_u32_e32 v18, 1, v17
	v_cndmask_b32_e64 v17, v17, v18, s[6:7]
	v_cmp_lt_i32_e64 s[2:3], v17, v15
	s_mov_b64 s[4:5], 0
	s_and_saveexec_b64 s[8:9], s[2:3]
	s_cbranch_execz .LBB4_106
; %bb.101:
	v_add_u32_e32 v15, 1, v16
	v_cndmask_b32_e64 v15, v15, v16, s[6:7]
	v_cmp_lt_i32_e64 s[2:3], v15, v14
	s_waitcnt lgkmcnt(0)
	v_cmp_nlt_f32_e64 s[4:5], v6, v8
	s_and_b64 s[10:11], s[2:3], s[4:5]
	s_mov_b64 s[2:3], -1
	s_and_saveexec_b64 s[4:5], s[10:11]
	s_cbranch_execz .LBB4_105
; %bb.102:
	v_cmp_eq_f32_e64 s[2:3], v6, v8
	s_mov_b64 s[10:11], 0
	s_and_saveexec_b64 s[12:13], s[2:3]
; %bb.103:
	v_cmp_lt_f32_e64 s[2:3], v7, v9
	s_and_b64 s[10:11], s[2:3], exec
; %bb.104:
	s_or_b64 exec, exec, s[12:13]
	s_orn2_b64 s[2:3], s[10:11], exec
.LBB4_105:
	s_or_b64 exec, exec, s[4:5]
	s_and_b64 s[4:5], s[2:3], exec
.LBB4_106:
	s_or_b64 exec, exec, s[8:9]
	s_waitcnt lgkmcnt(0)
	v_cndmask_b32_e64 v2, v4, v2, s[6:7]
	v_cndmask_b32_e64 v3, v5, v3, s[6:7]
	;; [unrolled: 1-line block ×4, first 2 shown]
	; wave barrier
	ds_write2_b64 v13, v[2:3], v[4:5] offset1:1
	v_min_i32_e32 v2, 0, v10
	v_add_u32_e32 v4, 32, v2
	v_min_i32_e32 v3, v10, v11
	v_min_i32_e32 v11, v10, v4
	v_add_u32_e32 v4, 32, v11
	v_min_i32_e32 v10, v10, v4
	v_sub_u32_e32 v5, v10, v11
	v_sub_u32_e32 v4, v11, v2
	v_sub_u32_e32 v7, v3, v5
	v_cmp_ge_i32_e64 s[2:3], v3, v5
	v_cndmask_b32_e64 v8, 0, v7, s[2:3]
	v_min_i32_e32 v4, v3, v4
	v_lshl_add_u32 v6, v2, 3, v12
	v_cmp_lt_i32_e64 s[2:3], v8, v4
	; wave barrier
	s_and_saveexec_b64 s[4:5], s[2:3]
	s_cbranch_execz .LBB4_114
; %bb.107:
	v_lshlrev_b32_e32 v5, 3, v11
	v_lshlrev_b32_e32 v7, 3, v3
	v_add3_u32 v5, v12, v5, v7
	s_mov_b64 s[6:7], 0
                                        ; implicit-def: $sgpr8_sgpr9
	s_branch .LBB4_110
.LBB4_108:                              ;   in Loop: Header=BB4_110 Depth=1
	s_or_b64 exec, exec, s[14:15]
	s_andn2_b64 s[2:3], s[8:9], exec
	s_and_b64 s[8:9], s[12:13], exec
	s_or_b64 s[8:9], s[2:3], s[8:9]
.LBB4_109:                              ;   in Loop: Header=BB4_110 Depth=1
	s_or_b64 exec, exec, s[10:11]
	v_add_u32_e32 v9, 1, v7
	v_cndmask_b32_e64 v4, v4, v7, s[8:9]
	v_cndmask_b32_e64 v8, v9, v8, s[8:9]
	v_cmp_ge_i32_e64 s[2:3], v8, v4
	s_or_b64 s[6:7], s[2:3], s[6:7]
	s_andn2_b64 exec, exec, s[6:7]
	s_cbranch_execz .LBB4_113
.LBB4_110:                              ; =>This Inner Loop Header: Depth=1
	v_sub_u32_e32 v7, v4, v8
	v_lshrrev_b32_e32 v7, 1, v7
	v_add_u32_e32 v7, v7, v8
	v_lshl_add_u32 v9, v7, 3, v6
	v_not_b32_e32 v13, v7
	v_lshl_add_u32 v13, v13, 3, v5
	ds_read_b32 v14, v9
	ds_read_b32 v15, v13
	s_or_b64 s[8:9], s[8:9], exec
	s_waitcnt lgkmcnt(0)
	v_cmp_nlt_f32_e64 s[2:3], v15, v14
	s_and_saveexec_b64 s[10:11], s[2:3]
	s_cbranch_execz .LBB4_109
; %bb.111:                              ;   in Loop: Header=BB4_110 Depth=1
	v_cmp_eq_f32_e64 s[2:3], v15, v14
	s_mov_b64 s[12:13], 0
	s_and_saveexec_b64 s[14:15], s[2:3]
	s_cbranch_execz .LBB4_108
; %bb.112:                              ;   in Loop: Header=BB4_110 Depth=1
	ds_read_b32 v13, v13 offset:4
	ds_read_b32 v9, v9 offset:4
	s_waitcnt lgkmcnt(0)
	v_cmp_lt_f32_e64 s[2:3], v13, v9
	s_and_b64 s[12:13], s[2:3], exec
	s_branch .LBB4_108
.LBB4_113:
	s_or_b64 exec, exec, s[6:7]
.LBB4_114:
	s_or_b64 exec, exec, s[4:5]
	v_add_u32_e32 v3, v3, v11
	v_sub_u32_e32 v13, v3, v8
	v_lshl_add_u32 v14, v13, 3, v12
	ds_read_b64 v[4:5], v14
	v_lshl_add_u32 v9, v8, 3, v6
	ds_read_b64 v[6:7], v9
	v_add_u32_e32 v12, v8, v2
	v_cmp_gt_i32_e64 s[2:3], v10, v13
	s_waitcnt lgkmcnt(1)
	v_mov_b32_e32 v2, v4
	v_mov_b32_e32 v3, v5
	s_mov_b64 s[6:7], 0
	s_and_saveexec_b64 s[8:9], s[2:3]
	s_cbranch_execz .LBB4_120
; %bb.115:
	v_cmp_gt_i32_e64 s[2:3], v11, v12
	s_waitcnt lgkmcnt(0)
	v_cmp_nlt_f32_e64 s[4:5], v4, v6
	s_and_b64 s[6:7], s[2:3], s[4:5]
	s_mov_b64 s[2:3], -1
	s_and_saveexec_b64 s[4:5], s[6:7]
	s_cbranch_execz .LBB4_119
; %bb.116:
	v_cmp_eq_f32_e64 s[2:3], v4, v6
	s_mov_b64 s[6:7], 0
	s_and_saveexec_b64 s[10:11], s[2:3]
; %bb.117:
	v_cmp_lt_f32_e64 s[2:3], v5, v7
	s_and_b64 s[6:7], s[2:3], exec
; %bb.118:
	s_or_b64 exec, exec, s[10:11]
	s_orn2_b64 s[2:3], s[6:7], exec
.LBB4_119:
	s_or_b64 exec, exec, s[4:5]
	s_and_b64 s[6:7], s[2:3], exec
.LBB4_120:
	s_or_b64 exec, exec, s[8:9]
	s_xor_b64 s[2:3], s[6:7], -1
                                        ; implicit-def: $vgpr8
	s_and_saveexec_b64 s[4:5], s[2:3]
	s_xor_b64 s[2:3], exec, s[4:5]
; %bb.121:
	ds_read_b64 v[8:9], v9 offset:8
                                        ; implicit-def: $vgpr14
; %bb.122:
	s_andn2_saveexec_b64 s[2:3], s[2:3]
	s_cbranch_execz .LBB4_124
; %bb.123:
	ds_read_b64 v[2:3], v14 offset:8
	s_waitcnt lgkmcnt(1)
	v_mov_b32_e32 v9, v7
	v_mov_b32_e32 v8, v6
.LBB4_124:
	s_or_b64 exec, exec, s[2:3]
	v_add_u32_e32 v14, 1, v13
	v_cndmask_b32_e64 v13, v13, v14, s[6:7]
	v_cmp_lt_i32_e64 s[2:3], v13, v10
	s_mov_b64 s[4:5], 0
	s_and_saveexec_b64 s[8:9], s[2:3]
	s_cbranch_execnz .LBB4_128
; %bb.125:
	s_or_b64 exec, exec, s[8:9]
	s_and_saveexec_b64 s[2:3], vcc
	s_cbranch_execnz .LBB4_133
.LBB4_126:
	s_or_b64 exec, exec, s[2:3]
	s_and_saveexec_b64 s[2:3], s[0:1]
	s_cbranch_execnz .LBB4_134
.LBB4_127:
	s_endpgm
.LBB4_128:
	v_add_u32_e32 v10, 1, v12
	v_cndmask_b32_e64 v10, v10, v12, s[6:7]
	v_cmp_lt_i32_e64 s[2:3], v10, v11
	s_waitcnt lgkmcnt(0)
	v_cmp_nlt_f32_e64 s[4:5], v2, v8
	s_and_b64 s[10:11], s[2:3], s[4:5]
	s_mov_b64 s[2:3], -1
	s_and_saveexec_b64 s[4:5], s[10:11]
	s_cbranch_execz .LBB4_132
; %bb.129:
	v_cmp_eq_f32_e64 s[2:3], v2, v8
	s_mov_b64 s[10:11], 0
	s_and_saveexec_b64 s[12:13], s[2:3]
; %bb.130:
	v_cmp_lt_f32_e64 s[2:3], v3, v9
	s_and_b64 s[10:11], s[2:3], exec
; %bb.131:
	s_or_b64 exec, exec, s[12:13]
	s_orn2_b64 s[2:3], s[10:11], exec
.LBB4_132:
	s_or_b64 exec, exec, s[4:5]
	s_and_b64 s[4:5], s[2:3], exec
	s_or_b64 exec, exec, s[8:9]
	s_and_saveexec_b64 s[2:3], vcc
	s_cbranch_execz .LBB4_126
.LBB4_133:
	s_waitcnt lgkmcnt(0)
	v_cndmask_b32_e64 v4, v6, v4, s[6:7]
	v_cndmask_b32_e64 v5, v7, v5, s[6:7]
	global_store_dwordx2 v[0:1], v[4:5], off
	s_or_b64 exec, exec, s[2:3]
	s_and_saveexec_b64 s[2:3], s[0:1]
	s_cbranch_execz .LBB4_127
.LBB4_134:
	s_waitcnt lgkmcnt(0)
	v_cndmask_b32_e64 v2, v8, v2, s[4:5]
	v_cndmask_b32_e64 v3, v9, v3, s[4:5]
	global_store_dwordx2 v[0:1], v[2:3], off offset:8
	s_endpgm
	.section	.rodata,"a",@progbits
	.p2align	6, 0x0
	.amdhsa_kernel _Z19sort_keys_segmentedILj256ELj32ELj2ELb0EN10test_utils16custom_test_typeIfEENS0_4lessEEvPT3_PKjT4_
		.amdhsa_group_segment_fixed_size 4160
		.amdhsa_private_segment_fixed_size 0
		.amdhsa_kernarg_size 20
		.amdhsa_user_sgpr_count 6
		.amdhsa_user_sgpr_private_segment_buffer 1
		.amdhsa_user_sgpr_dispatch_ptr 0
		.amdhsa_user_sgpr_queue_ptr 0
		.amdhsa_user_sgpr_kernarg_segment_ptr 1
		.amdhsa_user_sgpr_dispatch_id 0
		.amdhsa_user_sgpr_flat_scratch_init 0
		.amdhsa_user_sgpr_private_segment_size 0
		.amdhsa_uses_dynamic_stack 0
		.amdhsa_system_sgpr_private_segment_wavefront_offset 0
		.amdhsa_system_sgpr_workgroup_id_x 1
		.amdhsa_system_sgpr_workgroup_id_y 0
		.amdhsa_system_sgpr_workgroup_id_z 0
		.amdhsa_system_sgpr_workgroup_info 0
		.amdhsa_system_vgpr_workitem_id 0
		.amdhsa_next_free_vgpr 20
		.amdhsa_next_free_sgpr 16
		.amdhsa_reserve_vcc 1
		.amdhsa_reserve_flat_scratch 0
		.amdhsa_float_round_mode_32 0
		.amdhsa_float_round_mode_16_64 0
		.amdhsa_float_denorm_mode_32 3
		.amdhsa_float_denorm_mode_16_64 3
		.amdhsa_dx10_clamp 1
		.amdhsa_ieee_mode 1
		.amdhsa_fp16_overflow 0
		.amdhsa_exception_fp_ieee_invalid_op 0
		.amdhsa_exception_fp_denorm_src 0
		.amdhsa_exception_fp_ieee_div_zero 0
		.amdhsa_exception_fp_ieee_overflow 0
		.amdhsa_exception_fp_ieee_underflow 0
		.amdhsa_exception_fp_ieee_inexact 0
		.amdhsa_exception_int_div_zero 0
	.end_amdhsa_kernel
	.section	.text._Z19sort_keys_segmentedILj256ELj32ELj2ELb0EN10test_utils16custom_test_typeIfEENS0_4lessEEvPT3_PKjT4_,"axG",@progbits,_Z19sort_keys_segmentedILj256ELj32ELj2ELb0EN10test_utils16custom_test_typeIfEENS0_4lessEEvPT3_PKjT4_,comdat
.Lfunc_end4:
	.size	_Z19sort_keys_segmentedILj256ELj32ELj2ELb0EN10test_utils16custom_test_typeIfEENS0_4lessEEvPT3_PKjT4_, .Lfunc_end4-_Z19sort_keys_segmentedILj256ELj32ELj2ELb0EN10test_utils16custom_test_typeIfEENS0_4lessEEvPT3_PKjT4_
                                        ; -- End function
	.set _Z19sort_keys_segmentedILj256ELj32ELj2ELb0EN10test_utils16custom_test_typeIfEENS0_4lessEEvPT3_PKjT4_.num_vgpr, 20
	.set _Z19sort_keys_segmentedILj256ELj32ELj2ELb0EN10test_utils16custom_test_typeIfEENS0_4lessEEvPT3_PKjT4_.num_agpr, 0
	.set _Z19sort_keys_segmentedILj256ELj32ELj2ELb0EN10test_utils16custom_test_typeIfEENS0_4lessEEvPT3_PKjT4_.numbered_sgpr, 16
	.set _Z19sort_keys_segmentedILj256ELj32ELj2ELb0EN10test_utils16custom_test_typeIfEENS0_4lessEEvPT3_PKjT4_.num_named_barrier, 0
	.set _Z19sort_keys_segmentedILj256ELj32ELj2ELb0EN10test_utils16custom_test_typeIfEENS0_4lessEEvPT3_PKjT4_.private_seg_size, 0
	.set _Z19sort_keys_segmentedILj256ELj32ELj2ELb0EN10test_utils16custom_test_typeIfEENS0_4lessEEvPT3_PKjT4_.uses_vcc, 1
	.set _Z19sort_keys_segmentedILj256ELj32ELj2ELb0EN10test_utils16custom_test_typeIfEENS0_4lessEEvPT3_PKjT4_.uses_flat_scratch, 0
	.set _Z19sort_keys_segmentedILj256ELj32ELj2ELb0EN10test_utils16custom_test_typeIfEENS0_4lessEEvPT3_PKjT4_.has_dyn_sized_stack, 0
	.set _Z19sort_keys_segmentedILj256ELj32ELj2ELb0EN10test_utils16custom_test_typeIfEENS0_4lessEEvPT3_PKjT4_.has_recursion, 0
	.set _Z19sort_keys_segmentedILj256ELj32ELj2ELb0EN10test_utils16custom_test_typeIfEENS0_4lessEEvPT3_PKjT4_.has_indirect_call, 0
	.section	.AMDGPU.csdata,"",@progbits
; Kernel info:
; codeLenInByte = 3920
; TotalNumSgprs: 20
; NumVgprs: 20
; ScratchSize: 0
; MemoryBound: 0
; FloatMode: 240
; IeeeMode: 1
; LDSByteSize: 4160 bytes/workgroup (compile time only)
; SGPRBlocks: 2
; VGPRBlocks: 4
; NumSGPRsForWavesPerEU: 20
; NumVGPRsForWavesPerEU: 20
; Occupancy: 10
; WaveLimiterHint : 0
; COMPUTE_PGM_RSRC2:SCRATCH_EN: 0
; COMPUTE_PGM_RSRC2:USER_SGPR: 6
; COMPUTE_PGM_RSRC2:TRAP_HANDLER: 0
; COMPUTE_PGM_RSRC2:TGID_X_EN: 1
; COMPUTE_PGM_RSRC2:TGID_Y_EN: 0
; COMPUTE_PGM_RSRC2:TGID_Z_EN: 0
; COMPUTE_PGM_RSRC2:TIDIG_COMP_CNT: 0
	.section	.text._Z19sort_keys_segmentedILj32ELj32ELj1ELb0E12hip_bfloat16N10test_utils4lessEEvPT3_PKjT4_,"axG",@progbits,_Z19sort_keys_segmentedILj32ELj32ELj1ELb0E12hip_bfloat16N10test_utils4lessEEvPT3_PKjT4_,comdat
	.protected	_Z19sort_keys_segmentedILj32ELj32ELj1ELb0E12hip_bfloat16N10test_utils4lessEEvPT3_PKjT4_ ; -- Begin function _Z19sort_keys_segmentedILj32ELj32ELj1ELb0E12hip_bfloat16N10test_utils4lessEEvPT3_PKjT4_
	.globl	_Z19sort_keys_segmentedILj32ELj32ELj1ELb0E12hip_bfloat16N10test_utils4lessEEvPT3_PKjT4_
	.p2align	8
	.type	_Z19sort_keys_segmentedILj32ELj32ELj1ELb0E12hip_bfloat16N10test_utils4lessEEvPT3_PKjT4_,@function
_Z19sort_keys_segmentedILj32ELj32ELj1ELb0E12hip_bfloat16N10test_utils4lessEEvPT3_PKjT4_: ; @_Z19sort_keys_segmentedILj32ELj32ELj1ELb0E12hip_bfloat16N10test_utils4lessEEvPT3_PKjT4_
; %bb.0:
	s_load_dwordx4 s[0:3], s[4:5], 0x0
	s_mov_b32 s7, 0
	s_lshl_b64 s[4:5], s[6:7], 2
	v_mov_b32_e32 v0, 0
                                        ; implicit-def: $vgpr6
	s_waitcnt lgkmcnt(0)
	s_add_u32 s2, s2, s4
	s_addc_u32 s3, s3, s5
	global_load_dword v3, v0, s[2:3]
	s_lshl_b32 s6, s6, 5
	v_mbcnt_lo_u32_b32 v0, -1, 0
	s_lshl_b64 s[2:3], s[6:7], 1
	v_mbcnt_hi_u32_b32 v5, -1, v0
	s_add_u32 s0, s0, s2
	v_and_b32_e32 v4, 31, v5
	s_addc_u32 s1, s1, s3
	v_mov_b32_e32 v0, s0
	v_mov_b32_e32 v1, s1
	v_lshlrev_b32_e32 v2, 1, v4
	s_waitcnt vmcnt(0)
	v_cmp_lt_u32_e32 vcc, v4, v3
	s_and_saveexec_b64 s[2:3], vcc
	s_cbranch_execz .LBB5_2
; %bb.1:
	v_add_co_u32_e64 v6, s[0:1], v0, v2
	v_addc_co_u32_e64 v7, s[0:1], 0, v1, s[0:1]
	global_load_ushort v6, v[6:7], off
.LBB5_2:
	s_or_b64 exec, exec, s[2:3]
	; wave barrier
	s_waitcnt vmcnt(0)
	ds_write_b16 v2, v6
	v_and_b32_e32 v6, 30, v5
	v_and_b32_e32 v7, 1, v5
	v_min_i32_e32 v6, v3, v6
	v_min_i32_e32 v9, v3, v7
	v_add_u32_e32 v7, 1, v6
	v_min_i32_e32 v7, v3, v7
	v_add_u32_e32 v8, 1, v7
	v_min_i32_e32 v8, v3, v8
	v_sub_u32_e32 v10, v8, v7
	v_sub_u32_e32 v12, v7, v6
	;; [unrolled: 1-line block ×3, first 2 shown]
	v_cmp_ge_i32_e64 s[0:1], v9, v10
	v_cndmask_b32_e64 v10, 0, v13, s[0:1]
	v_min_i32_e32 v12, v9, v12
	v_lshlrev_b32_e32 v11, 1, v6
	v_cmp_lt_i32_e64 s[0:1], v10, v12
	; wave barrier
	s_and_saveexec_b64 s[2:3], s[0:1]
	s_cbranch_execz .LBB5_6
; %bb.3:
	v_lshlrev_b32_e32 v13, 1, v9
	v_lshl_add_u32 v13, v7, 1, v13
	s_mov_b64 s[4:5], 0
.LBB5_4:                                ; =>This Inner Loop Header: Depth=1
	v_sub_u32_e32 v14, v12, v10
	v_lshrrev_b32_e32 v14, 1, v14
	v_add_u32_e32 v14, v14, v10
	v_not_b32_e32 v16, v14
	v_lshl_add_u32 v15, v14, 1, v11
	v_lshl_add_u32 v16, v16, 1, v13
	ds_read_u16 v15, v15
	ds_read_u16 v16, v16
	v_add_u32_e32 v17, 1, v14
	s_waitcnt lgkmcnt(1)
	v_lshlrev_b32_e32 v15, 16, v15
	s_waitcnt lgkmcnt(0)
	v_lshlrev_b32_e32 v16, 16, v16
	v_cmp_lt_f32_e64 s[0:1], v16, v15
	v_cndmask_b32_e64 v12, v12, v14, s[0:1]
	v_cndmask_b32_e64 v10, v17, v10, s[0:1]
	v_cmp_ge_i32_e64 s[0:1], v10, v12
	s_or_b64 s[4:5], s[0:1], s[4:5]
	s_andn2_b64 exec, exec, s[4:5]
	s_cbranch_execnz .LBB5_4
; %bb.5:
	s_or_b64 exec, exec, s[4:5]
.LBB5_6:
	s_or_b64 exec, exec, s[2:3]
	v_add_u32_e32 v9, v7, v9
	v_sub_u32_e32 v9, v9, v10
	v_lshl_add_u32 v11, v10, 1, v11
	v_lshlrev_b32_e32 v12, 1, v9
	ds_read_u16 v11, v11
	ds_read_u16 v12, v12
	v_add_u32_e32 v6, v10, v6
	v_cmp_le_i32_e64 s[2:3], v7, v6
	v_cmp_gt_i32_e64 s[0:1], v8, v9
	s_waitcnt lgkmcnt(1)
	v_lshlrev_b32_e32 v6, 16, v11
	s_waitcnt lgkmcnt(0)
	v_lshlrev_b32_e32 v7, 16, v12
	v_cmp_lt_f32_e64 s[4:5], v7, v6
	s_or_b64 s[2:3], s[2:3], s[4:5]
	s_and_b64 s[0:1], s[0:1], s[2:3]
	v_cndmask_b32_e64 v6, v11, v12, s[0:1]
	; wave barrier
	ds_write_b16 v2, v6
	v_and_b32_e32 v6, 28, v5
	v_and_b32_e32 v7, 3, v5
	v_min_i32_e32 v6, v3, v6
	v_min_i32_e32 v9, v3, v7
	v_add_u32_e32 v7, 2, v6
	v_min_i32_e32 v7, v3, v7
	v_add_u32_e32 v8, 2, v7
	v_min_i32_e32 v8, v3, v8
	v_sub_u32_e32 v10, v8, v7
	v_sub_u32_e32 v12, v7, v6
	;; [unrolled: 1-line block ×3, first 2 shown]
	v_cmp_ge_i32_e64 s[0:1], v9, v10
	v_cndmask_b32_e64 v10, 0, v13, s[0:1]
	v_min_i32_e32 v12, v9, v12
	v_lshlrev_b32_e32 v11, 1, v6
	v_cmp_lt_i32_e64 s[0:1], v10, v12
	; wave barrier
	s_and_saveexec_b64 s[2:3], s[0:1]
	s_cbranch_execz .LBB5_10
; %bb.7:
	v_lshlrev_b32_e32 v13, 1, v9
	v_lshl_add_u32 v13, v7, 1, v13
	s_mov_b64 s[4:5], 0
.LBB5_8:                                ; =>This Inner Loop Header: Depth=1
	v_sub_u32_e32 v14, v12, v10
	v_lshrrev_b32_e32 v14, 1, v14
	v_add_u32_e32 v14, v14, v10
	v_not_b32_e32 v16, v14
	v_lshl_add_u32 v15, v14, 1, v11
	v_lshl_add_u32 v16, v16, 1, v13
	ds_read_u16 v15, v15
	ds_read_u16 v16, v16
	v_add_u32_e32 v17, 1, v14
	s_waitcnt lgkmcnt(1)
	v_lshlrev_b32_e32 v15, 16, v15
	s_waitcnt lgkmcnt(0)
	v_lshlrev_b32_e32 v16, 16, v16
	v_cmp_lt_f32_e64 s[0:1], v16, v15
	v_cndmask_b32_e64 v12, v12, v14, s[0:1]
	v_cndmask_b32_e64 v10, v17, v10, s[0:1]
	v_cmp_ge_i32_e64 s[0:1], v10, v12
	s_or_b64 s[4:5], s[0:1], s[4:5]
	s_andn2_b64 exec, exec, s[4:5]
	s_cbranch_execnz .LBB5_8
; %bb.9:
	s_or_b64 exec, exec, s[4:5]
.LBB5_10:
	s_or_b64 exec, exec, s[2:3]
	v_add_u32_e32 v9, v7, v9
	v_sub_u32_e32 v9, v9, v10
	v_lshl_add_u32 v11, v10, 1, v11
	v_lshlrev_b32_e32 v12, 1, v9
	ds_read_u16 v11, v11
	ds_read_u16 v12, v12
	v_add_u32_e32 v6, v10, v6
	v_cmp_le_i32_e64 s[2:3], v7, v6
	v_cmp_gt_i32_e64 s[0:1], v8, v9
	s_waitcnt lgkmcnt(1)
	v_lshlrev_b32_e32 v6, 16, v11
	s_waitcnt lgkmcnt(0)
	v_lshlrev_b32_e32 v7, 16, v12
	v_cmp_lt_f32_e64 s[4:5], v7, v6
	s_or_b64 s[2:3], s[2:3], s[4:5]
	s_and_b64 s[0:1], s[0:1], s[2:3]
	v_cndmask_b32_e64 v6, v11, v12, s[0:1]
	; wave barrier
	ds_write_b16 v2, v6
	v_and_b32_e32 v6, 24, v5
	v_and_b32_e32 v7, 7, v5
	v_min_i32_e32 v6, v3, v6
	v_min_i32_e32 v9, v3, v7
	v_add_u32_e32 v7, 4, v6
	v_min_i32_e32 v7, v3, v7
	v_add_u32_e32 v8, 4, v7
	v_min_i32_e32 v8, v3, v8
	v_sub_u32_e32 v10, v8, v7
	v_sub_u32_e32 v12, v7, v6
	;; [unrolled: 1-line block ×3, first 2 shown]
	v_cmp_ge_i32_e64 s[0:1], v9, v10
	v_cndmask_b32_e64 v10, 0, v13, s[0:1]
	v_min_i32_e32 v12, v9, v12
	v_lshlrev_b32_e32 v11, 1, v6
	v_cmp_lt_i32_e64 s[0:1], v10, v12
	; wave barrier
	s_and_saveexec_b64 s[2:3], s[0:1]
	s_cbranch_execz .LBB5_14
; %bb.11:
	v_lshlrev_b32_e32 v13, 1, v9
	v_lshl_add_u32 v13, v7, 1, v13
	s_mov_b64 s[4:5], 0
.LBB5_12:                               ; =>This Inner Loop Header: Depth=1
	v_sub_u32_e32 v14, v12, v10
	v_lshrrev_b32_e32 v14, 1, v14
	v_add_u32_e32 v14, v14, v10
	v_not_b32_e32 v16, v14
	v_lshl_add_u32 v15, v14, 1, v11
	v_lshl_add_u32 v16, v16, 1, v13
	ds_read_u16 v15, v15
	ds_read_u16 v16, v16
	v_add_u32_e32 v17, 1, v14
	s_waitcnt lgkmcnt(1)
	v_lshlrev_b32_e32 v15, 16, v15
	s_waitcnt lgkmcnt(0)
	v_lshlrev_b32_e32 v16, 16, v16
	v_cmp_lt_f32_e64 s[0:1], v16, v15
	v_cndmask_b32_e64 v12, v12, v14, s[0:1]
	v_cndmask_b32_e64 v10, v17, v10, s[0:1]
	v_cmp_ge_i32_e64 s[0:1], v10, v12
	s_or_b64 s[4:5], s[0:1], s[4:5]
	s_andn2_b64 exec, exec, s[4:5]
	s_cbranch_execnz .LBB5_12
; %bb.13:
	s_or_b64 exec, exec, s[4:5]
.LBB5_14:
	s_or_b64 exec, exec, s[2:3]
	v_add_u32_e32 v9, v7, v9
	v_sub_u32_e32 v9, v9, v10
	v_lshl_add_u32 v11, v10, 1, v11
	v_lshlrev_b32_e32 v12, 1, v9
	ds_read_u16 v11, v11
	ds_read_u16 v12, v12
	v_add_u32_e32 v6, v10, v6
	v_cmp_le_i32_e64 s[2:3], v7, v6
	v_cmp_gt_i32_e64 s[0:1], v8, v9
	s_waitcnt lgkmcnt(1)
	v_lshlrev_b32_e32 v6, 16, v11
	s_waitcnt lgkmcnt(0)
	v_lshlrev_b32_e32 v7, 16, v12
	v_cmp_lt_f32_e64 s[4:5], v7, v6
	s_or_b64 s[2:3], s[2:3], s[4:5]
	s_and_b64 s[0:1], s[0:1], s[2:3]
	v_cndmask_b32_e64 v6, v11, v12, s[0:1]
	; wave barrier
	ds_write_b16 v2, v6
	v_and_b32_e32 v6, 16, v5
	v_and_b32_e32 v5, 15, v5
	v_min_i32_e32 v8, v3, v5
	v_min_i32_e32 v5, v3, v6
	v_add_u32_e32 v6, 8, v5
	v_min_i32_e32 v6, v3, v6
	v_add_u32_e32 v7, 8, v6
	v_min_i32_e32 v7, v3, v7
	v_sub_u32_e32 v9, v7, v6
	v_sub_u32_e32 v11, v6, v5
	;; [unrolled: 1-line block ×3, first 2 shown]
	v_cmp_ge_i32_e64 s[0:1], v8, v9
	v_cndmask_b32_e64 v9, 0, v12, s[0:1]
	v_min_i32_e32 v11, v8, v11
	v_lshlrev_b32_e32 v10, 1, v5
	v_cmp_lt_i32_e64 s[0:1], v9, v11
	; wave barrier
	s_and_saveexec_b64 s[2:3], s[0:1]
	s_cbranch_execz .LBB5_18
; %bb.15:
	v_lshlrev_b32_e32 v12, 1, v8
	v_lshl_add_u32 v12, v6, 1, v12
	s_mov_b64 s[4:5], 0
.LBB5_16:                               ; =>This Inner Loop Header: Depth=1
	v_sub_u32_e32 v13, v11, v9
	v_lshrrev_b32_e32 v13, 1, v13
	v_add_u32_e32 v13, v13, v9
	v_not_b32_e32 v15, v13
	v_lshl_add_u32 v14, v13, 1, v10
	v_lshl_add_u32 v15, v15, 1, v12
	ds_read_u16 v14, v14
	ds_read_u16 v15, v15
	v_add_u32_e32 v16, 1, v13
	s_waitcnt lgkmcnt(1)
	v_lshlrev_b32_e32 v14, 16, v14
	s_waitcnt lgkmcnt(0)
	v_lshlrev_b32_e32 v15, 16, v15
	v_cmp_lt_f32_e64 s[0:1], v15, v14
	v_cndmask_b32_e64 v11, v11, v13, s[0:1]
	v_cndmask_b32_e64 v9, v16, v9, s[0:1]
	v_cmp_ge_i32_e64 s[0:1], v9, v11
	s_or_b64 s[4:5], s[0:1], s[4:5]
	s_andn2_b64 exec, exec, s[4:5]
	s_cbranch_execnz .LBB5_16
; %bb.17:
	s_or_b64 exec, exec, s[4:5]
.LBB5_18:
	s_or_b64 exec, exec, s[2:3]
	v_add_u32_e32 v8, v6, v8
	v_sub_u32_e32 v8, v8, v9
	v_lshl_add_u32 v10, v9, 1, v10
	v_lshlrev_b32_e32 v11, 1, v8
	ds_read_u16 v10, v10
	ds_read_u16 v11, v11
	v_add_u32_e32 v5, v9, v5
	v_cmp_le_i32_e64 s[2:3], v6, v5
	v_cmp_gt_i32_e64 s[0:1], v7, v8
	s_waitcnt lgkmcnt(1)
	v_lshlrev_b32_e32 v5, 16, v10
	s_waitcnt lgkmcnt(0)
	v_lshlrev_b32_e32 v6, 16, v11
	v_cmp_lt_f32_e64 s[4:5], v6, v5
	s_or_b64 s[2:3], s[2:3], s[4:5]
	s_and_b64 s[0:1], s[0:1], s[2:3]
	v_cndmask_b32_e64 v5, v10, v11, s[0:1]
	v_min_i32_e32 v7, v3, v4
	v_min_i32_e32 v4, 0, v3
	; wave barrier
	ds_write_b16 v2, v5
	v_add_u32_e32 v5, 16, v4
	v_min_i32_e32 v5, v3, v5
	v_add_u32_e32 v6, 16, v5
	v_min_i32_e32 v3, v3, v6
	v_sub_u32_e32 v6, v3, v5
	v_sub_u32_e32 v9, v5, v4
	;; [unrolled: 1-line block ×3, first 2 shown]
	v_cmp_ge_i32_e64 s[0:1], v7, v6
	v_cndmask_b32_e64 v6, 0, v10, s[0:1]
	v_min_i32_e32 v9, v7, v9
	v_lshlrev_b32_e32 v8, 1, v4
	v_cmp_lt_i32_e64 s[0:1], v6, v9
	; wave barrier
	s_and_saveexec_b64 s[2:3], s[0:1]
	s_cbranch_execnz .LBB5_21
; %bb.19:
	s_or_b64 exec, exec, s[2:3]
	s_and_saveexec_b64 s[0:1], vcc
	s_cbranch_execnz .LBB5_24
.LBB5_20:
	s_endpgm
.LBB5_21:
	v_lshlrev_b32_e32 v10, 1, v7
	v_lshl_add_u32 v10, v5, 1, v10
	s_mov_b64 s[4:5], 0
.LBB5_22:                               ; =>This Inner Loop Header: Depth=1
	v_sub_u32_e32 v11, v9, v6
	v_lshrrev_b32_e32 v11, 1, v11
	v_add_u32_e32 v11, v11, v6
	v_not_b32_e32 v13, v11
	v_lshl_add_u32 v12, v11, 1, v8
	v_lshl_add_u32 v13, v13, 1, v10
	ds_read_u16 v12, v12
	ds_read_u16 v13, v13
	v_add_u32_e32 v14, 1, v11
	s_waitcnt lgkmcnt(1)
	v_lshlrev_b32_e32 v12, 16, v12
	s_waitcnt lgkmcnt(0)
	v_lshlrev_b32_e32 v13, 16, v13
	v_cmp_lt_f32_e64 s[0:1], v13, v12
	v_cndmask_b32_e64 v9, v9, v11, s[0:1]
	v_cndmask_b32_e64 v6, v14, v6, s[0:1]
	v_cmp_ge_i32_e64 s[0:1], v6, v9
	s_or_b64 s[4:5], s[0:1], s[4:5]
	s_andn2_b64 exec, exec, s[4:5]
	s_cbranch_execnz .LBB5_22
; %bb.23:
	s_or_b64 exec, exec, s[4:5]
	s_or_b64 exec, exec, s[2:3]
	s_and_saveexec_b64 s[0:1], vcc
	s_cbranch_execz .LBB5_20
.LBB5_24:
	v_add_u32_e32 v7, v5, v7
	v_sub_u32_e32 v7, v7, v6
	v_lshlrev_b32_e32 v9, 1, v7
	v_lshl_add_u32 v8, v6, 1, v8
	ds_read_u16 v9, v9
	ds_read_u16 v8, v8
	v_add_co_u32_e32 v0, vcc, v0, v2
	v_addc_co_u32_e32 v1, vcc, 0, v1, vcc
	v_add_u32_e32 v2, v6, v4
	v_cmp_gt_i32_e32 vcc, v3, v7
	v_cmp_le_i32_e64 s[0:1], v5, v2
	s_waitcnt lgkmcnt(0)
	v_lshlrev_b32_e32 v2, 16, v8
	v_lshlrev_b32_e32 v3, 16, v9
	v_cmp_lt_f32_e64 s[2:3], v3, v2
	s_or_b64 s[0:1], s[0:1], s[2:3]
	s_and_b64 vcc, vcc, s[0:1]
	v_cndmask_b32_e32 v2, v8, v9, vcc
	global_store_short v[0:1], v2, off
	s_endpgm
	.section	.rodata,"a",@progbits
	.p2align	6, 0x0
	.amdhsa_kernel _Z19sort_keys_segmentedILj32ELj32ELj1ELb0E12hip_bfloat16N10test_utils4lessEEvPT3_PKjT4_
		.amdhsa_group_segment_fixed_size 66
		.amdhsa_private_segment_fixed_size 0
		.amdhsa_kernarg_size 20
		.amdhsa_user_sgpr_count 6
		.amdhsa_user_sgpr_private_segment_buffer 1
		.amdhsa_user_sgpr_dispatch_ptr 0
		.amdhsa_user_sgpr_queue_ptr 0
		.amdhsa_user_sgpr_kernarg_segment_ptr 1
		.amdhsa_user_sgpr_dispatch_id 0
		.amdhsa_user_sgpr_flat_scratch_init 0
		.amdhsa_user_sgpr_private_segment_size 0
		.amdhsa_uses_dynamic_stack 0
		.amdhsa_system_sgpr_private_segment_wavefront_offset 0
		.amdhsa_system_sgpr_workgroup_id_x 1
		.amdhsa_system_sgpr_workgroup_id_y 0
		.amdhsa_system_sgpr_workgroup_id_z 0
		.amdhsa_system_sgpr_workgroup_info 0
		.amdhsa_system_vgpr_workitem_id 0
		.amdhsa_next_free_vgpr 18
		.amdhsa_next_free_sgpr 8
		.amdhsa_reserve_vcc 1
		.amdhsa_reserve_flat_scratch 0
		.amdhsa_float_round_mode_32 0
		.amdhsa_float_round_mode_16_64 0
		.amdhsa_float_denorm_mode_32 3
		.amdhsa_float_denorm_mode_16_64 3
		.amdhsa_dx10_clamp 1
		.amdhsa_ieee_mode 1
		.amdhsa_fp16_overflow 0
		.amdhsa_exception_fp_ieee_invalid_op 0
		.amdhsa_exception_fp_denorm_src 0
		.amdhsa_exception_fp_ieee_div_zero 0
		.amdhsa_exception_fp_ieee_overflow 0
		.amdhsa_exception_fp_ieee_underflow 0
		.amdhsa_exception_fp_ieee_inexact 0
		.amdhsa_exception_int_div_zero 0
	.end_amdhsa_kernel
	.section	.text._Z19sort_keys_segmentedILj32ELj32ELj1ELb0E12hip_bfloat16N10test_utils4lessEEvPT3_PKjT4_,"axG",@progbits,_Z19sort_keys_segmentedILj32ELj32ELj1ELb0E12hip_bfloat16N10test_utils4lessEEvPT3_PKjT4_,comdat
.Lfunc_end5:
	.size	_Z19sort_keys_segmentedILj32ELj32ELj1ELb0E12hip_bfloat16N10test_utils4lessEEvPT3_PKjT4_, .Lfunc_end5-_Z19sort_keys_segmentedILj32ELj32ELj1ELb0E12hip_bfloat16N10test_utils4lessEEvPT3_PKjT4_
                                        ; -- End function
	.set _Z19sort_keys_segmentedILj32ELj32ELj1ELb0E12hip_bfloat16N10test_utils4lessEEvPT3_PKjT4_.num_vgpr, 18
	.set _Z19sort_keys_segmentedILj32ELj32ELj1ELb0E12hip_bfloat16N10test_utils4lessEEvPT3_PKjT4_.num_agpr, 0
	.set _Z19sort_keys_segmentedILj32ELj32ELj1ELb0E12hip_bfloat16N10test_utils4lessEEvPT3_PKjT4_.numbered_sgpr, 8
	.set _Z19sort_keys_segmentedILj32ELj32ELj1ELb0E12hip_bfloat16N10test_utils4lessEEvPT3_PKjT4_.num_named_barrier, 0
	.set _Z19sort_keys_segmentedILj32ELj32ELj1ELb0E12hip_bfloat16N10test_utils4lessEEvPT3_PKjT4_.private_seg_size, 0
	.set _Z19sort_keys_segmentedILj32ELj32ELj1ELb0E12hip_bfloat16N10test_utils4lessEEvPT3_PKjT4_.uses_vcc, 1
	.set _Z19sort_keys_segmentedILj32ELj32ELj1ELb0E12hip_bfloat16N10test_utils4lessEEvPT3_PKjT4_.uses_flat_scratch, 0
	.set _Z19sort_keys_segmentedILj32ELj32ELj1ELb0E12hip_bfloat16N10test_utils4lessEEvPT3_PKjT4_.has_dyn_sized_stack, 0
	.set _Z19sort_keys_segmentedILj32ELj32ELj1ELb0E12hip_bfloat16N10test_utils4lessEEvPT3_PKjT4_.has_recursion, 0
	.set _Z19sort_keys_segmentedILj32ELj32ELj1ELb0E12hip_bfloat16N10test_utils4lessEEvPT3_PKjT4_.has_indirect_call, 0
	.section	.AMDGPU.csdata,"",@progbits
; Kernel info:
; codeLenInByte = 1780
; TotalNumSgprs: 12
; NumVgprs: 18
; ScratchSize: 0
; MemoryBound: 0
; FloatMode: 240
; IeeeMode: 1
; LDSByteSize: 66 bytes/workgroup (compile time only)
; SGPRBlocks: 1
; VGPRBlocks: 4
; NumSGPRsForWavesPerEU: 12
; NumVGPRsForWavesPerEU: 18
; Occupancy: 10
; WaveLimiterHint : 0
; COMPUTE_PGM_RSRC2:SCRATCH_EN: 0
; COMPUTE_PGM_RSRC2:USER_SGPR: 6
; COMPUTE_PGM_RSRC2:TRAP_HANDLER: 0
; COMPUTE_PGM_RSRC2:TGID_X_EN: 1
; COMPUTE_PGM_RSRC2:TGID_Y_EN: 0
; COMPUTE_PGM_RSRC2:TGID_Z_EN: 0
; COMPUTE_PGM_RSRC2:TIDIG_COMP_CNT: 0
	.section	.text._Z19sort_keys_segmentedILj32ELj32ELj1ELb0E6__halfN10test_utils4lessEEvPT3_PKjT4_,"axG",@progbits,_Z19sort_keys_segmentedILj32ELj32ELj1ELb0E6__halfN10test_utils4lessEEvPT3_PKjT4_,comdat
	.protected	_Z19sort_keys_segmentedILj32ELj32ELj1ELb0E6__halfN10test_utils4lessEEvPT3_PKjT4_ ; -- Begin function _Z19sort_keys_segmentedILj32ELj32ELj1ELb0E6__halfN10test_utils4lessEEvPT3_PKjT4_
	.globl	_Z19sort_keys_segmentedILj32ELj32ELj1ELb0E6__halfN10test_utils4lessEEvPT3_PKjT4_
	.p2align	8
	.type	_Z19sort_keys_segmentedILj32ELj32ELj1ELb0E6__halfN10test_utils4lessEEvPT3_PKjT4_,@function
_Z19sort_keys_segmentedILj32ELj32ELj1ELb0E6__halfN10test_utils4lessEEvPT3_PKjT4_: ; @_Z19sort_keys_segmentedILj32ELj32ELj1ELb0E6__halfN10test_utils4lessEEvPT3_PKjT4_
; %bb.0:
	s_load_dwordx4 s[0:3], s[4:5], 0x0
	s_mov_b32 s7, 0
	s_lshl_b64 s[4:5], s[6:7], 2
	v_mov_b32_e32 v0, 0
                                        ; implicit-def: $vgpr6
	s_waitcnt lgkmcnt(0)
	s_add_u32 s2, s2, s4
	s_addc_u32 s3, s3, s5
	global_load_dword v3, v0, s[2:3]
	s_lshl_b32 s6, s6, 5
	v_mbcnt_lo_u32_b32 v0, -1, 0
	s_lshl_b64 s[2:3], s[6:7], 1
	v_mbcnt_hi_u32_b32 v5, -1, v0
	s_add_u32 s0, s0, s2
	v_and_b32_e32 v4, 31, v5
	s_addc_u32 s1, s1, s3
	v_mov_b32_e32 v0, s0
	v_mov_b32_e32 v1, s1
	v_lshlrev_b32_e32 v2, 1, v4
	s_waitcnt vmcnt(0)
	v_cmp_lt_u32_e32 vcc, v4, v3
	s_and_saveexec_b64 s[2:3], vcc
	s_cbranch_execz .LBB6_2
; %bb.1:
	v_add_co_u32_e64 v6, s[0:1], v0, v2
	v_addc_co_u32_e64 v7, s[0:1], 0, v1, s[0:1]
	global_load_ushort v6, v[6:7], off
.LBB6_2:
	s_or_b64 exec, exec, s[2:3]
	; wave barrier
	s_waitcnt vmcnt(0)
	ds_write_b16 v2, v6
	v_and_b32_e32 v6, 30, v5
	v_and_b32_e32 v7, 1, v5
	v_min_i32_e32 v6, v3, v6
	v_min_i32_e32 v9, v3, v7
	v_add_u32_e32 v7, 1, v6
	v_min_i32_e32 v7, v3, v7
	v_add_u32_e32 v8, 1, v7
	v_min_i32_e32 v8, v3, v8
	v_sub_u32_e32 v10, v8, v7
	v_sub_u32_e32 v12, v7, v6
	;; [unrolled: 1-line block ×3, first 2 shown]
	v_cmp_ge_i32_e64 s[0:1], v9, v10
	v_cndmask_b32_e64 v10, 0, v13, s[0:1]
	v_min_i32_e32 v12, v9, v12
	v_lshlrev_b32_e32 v11, 1, v6
	v_cmp_lt_i32_e64 s[0:1], v10, v12
	; wave barrier
	s_and_saveexec_b64 s[2:3], s[0:1]
	s_cbranch_execz .LBB6_6
; %bb.3:
	v_lshlrev_b32_e32 v13, 1, v9
	v_lshl_add_u32 v13, v7, 1, v13
	s_mov_b64 s[4:5], 0
.LBB6_4:                                ; =>This Inner Loop Header: Depth=1
	v_sub_u32_e32 v14, v12, v10
	v_lshrrev_b32_e32 v14, 1, v14
	v_add_u32_e32 v14, v14, v10
	v_not_b32_e32 v16, v14
	v_lshl_add_u32 v15, v14, 1, v11
	v_lshl_add_u32 v16, v16, 1, v13
	ds_read_u16 v15, v15
	ds_read_u16 v16, v16
	v_add_u32_e32 v17, 1, v14
	s_waitcnt lgkmcnt(0)
	v_cmp_lt_f16_e64 s[0:1], v16, v15
	v_cndmask_b32_e64 v12, v12, v14, s[0:1]
	v_cndmask_b32_e64 v10, v17, v10, s[0:1]
	v_cmp_ge_i32_e64 s[0:1], v10, v12
	s_or_b64 s[4:5], s[0:1], s[4:5]
	s_andn2_b64 exec, exec, s[4:5]
	s_cbranch_execnz .LBB6_4
; %bb.5:
	s_or_b64 exec, exec, s[4:5]
.LBB6_6:
	s_or_b64 exec, exec, s[2:3]
	v_add_u32_e32 v9, v7, v9
	v_sub_u32_e32 v9, v9, v10
	v_lshl_add_u32 v11, v10, 1, v11
	v_lshlrev_b32_e32 v12, 1, v9
	ds_read_u16 v11, v11
	ds_read_u16 v12, v12
	v_add_u32_e32 v6, v10, v6
	v_cmp_le_i32_e64 s[2:3], v7, v6
	v_cmp_gt_i32_e64 s[0:1], v8, v9
	s_waitcnt lgkmcnt(0)
	v_cmp_lt_f16_e64 s[4:5], v12, v11
	s_or_b64 s[2:3], s[2:3], s[4:5]
	s_and_b64 s[0:1], s[0:1], s[2:3]
	v_cndmask_b32_e64 v6, v11, v12, s[0:1]
	; wave barrier
	ds_write_b16 v2, v6
	v_and_b32_e32 v6, 28, v5
	v_and_b32_e32 v7, 3, v5
	v_min_i32_e32 v6, v3, v6
	v_min_i32_e32 v9, v3, v7
	v_add_u32_e32 v7, 2, v6
	v_min_i32_e32 v7, v3, v7
	v_add_u32_e32 v8, 2, v7
	v_min_i32_e32 v8, v3, v8
	v_sub_u32_e32 v10, v8, v7
	v_sub_u32_e32 v12, v7, v6
	;; [unrolled: 1-line block ×3, first 2 shown]
	v_cmp_ge_i32_e64 s[0:1], v9, v10
	v_cndmask_b32_e64 v10, 0, v13, s[0:1]
	v_min_i32_e32 v12, v9, v12
	v_lshlrev_b32_e32 v11, 1, v6
	v_cmp_lt_i32_e64 s[0:1], v10, v12
	; wave barrier
	s_and_saveexec_b64 s[2:3], s[0:1]
	s_cbranch_execz .LBB6_10
; %bb.7:
	v_lshlrev_b32_e32 v13, 1, v9
	v_lshl_add_u32 v13, v7, 1, v13
	s_mov_b64 s[4:5], 0
.LBB6_8:                                ; =>This Inner Loop Header: Depth=1
	v_sub_u32_e32 v14, v12, v10
	v_lshrrev_b32_e32 v14, 1, v14
	v_add_u32_e32 v14, v14, v10
	v_not_b32_e32 v16, v14
	v_lshl_add_u32 v15, v14, 1, v11
	v_lshl_add_u32 v16, v16, 1, v13
	ds_read_u16 v15, v15
	ds_read_u16 v16, v16
	v_add_u32_e32 v17, 1, v14
	s_waitcnt lgkmcnt(0)
	v_cmp_lt_f16_e64 s[0:1], v16, v15
	v_cndmask_b32_e64 v12, v12, v14, s[0:1]
	v_cndmask_b32_e64 v10, v17, v10, s[0:1]
	v_cmp_ge_i32_e64 s[0:1], v10, v12
	s_or_b64 s[4:5], s[0:1], s[4:5]
	s_andn2_b64 exec, exec, s[4:5]
	s_cbranch_execnz .LBB6_8
; %bb.9:
	s_or_b64 exec, exec, s[4:5]
.LBB6_10:
	s_or_b64 exec, exec, s[2:3]
	v_add_u32_e32 v9, v7, v9
	v_sub_u32_e32 v9, v9, v10
	v_lshl_add_u32 v11, v10, 1, v11
	v_lshlrev_b32_e32 v12, 1, v9
	ds_read_u16 v11, v11
	ds_read_u16 v12, v12
	v_add_u32_e32 v6, v10, v6
	v_cmp_le_i32_e64 s[2:3], v7, v6
	v_cmp_gt_i32_e64 s[0:1], v8, v9
	s_waitcnt lgkmcnt(0)
	v_cmp_lt_f16_e64 s[4:5], v12, v11
	s_or_b64 s[2:3], s[2:3], s[4:5]
	s_and_b64 s[0:1], s[0:1], s[2:3]
	v_cndmask_b32_e64 v6, v11, v12, s[0:1]
	; wave barrier
	ds_write_b16 v2, v6
	v_and_b32_e32 v6, 24, v5
	v_and_b32_e32 v7, 7, v5
	v_min_i32_e32 v6, v3, v6
	v_min_i32_e32 v9, v3, v7
	v_add_u32_e32 v7, 4, v6
	v_min_i32_e32 v7, v3, v7
	v_add_u32_e32 v8, 4, v7
	v_min_i32_e32 v8, v3, v8
	v_sub_u32_e32 v10, v8, v7
	v_sub_u32_e32 v12, v7, v6
	;; [unrolled: 1-line block ×3, first 2 shown]
	v_cmp_ge_i32_e64 s[0:1], v9, v10
	v_cndmask_b32_e64 v10, 0, v13, s[0:1]
	v_min_i32_e32 v12, v9, v12
	v_lshlrev_b32_e32 v11, 1, v6
	v_cmp_lt_i32_e64 s[0:1], v10, v12
	; wave barrier
	s_and_saveexec_b64 s[2:3], s[0:1]
	s_cbranch_execz .LBB6_14
; %bb.11:
	v_lshlrev_b32_e32 v13, 1, v9
	v_lshl_add_u32 v13, v7, 1, v13
	s_mov_b64 s[4:5], 0
.LBB6_12:                               ; =>This Inner Loop Header: Depth=1
	v_sub_u32_e32 v14, v12, v10
	v_lshrrev_b32_e32 v14, 1, v14
	v_add_u32_e32 v14, v14, v10
	v_not_b32_e32 v16, v14
	v_lshl_add_u32 v15, v14, 1, v11
	v_lshl_add_u32 v16, v16, 1, v13
	ds_read_u16 v15, v15
	ds_read_u16 v16, v16
	v_add_u32_e32 v17, 1, v14
	s_waitcnt lgkmcnt(0)
	v_cmp_lt_f16_e64 s[0:1], v16, v15
	v_cndmask_b32_e64 v12, v12, v14, s[0:1]
	v_cndmask_b32_e64 v10, v17, v10, s[0:1]
	v_cmp_ge_i32_e64 s[0:1], v10, v12
	s_or_b64 s[4:5], s[0:1], s[4:5]
	s_andn2_b64 exec, exec, s[4:5]
	s_cbranch_execnz .LBB6_12
; %bb.13:
	s_or_b64 exec, exec, s[4:5]
.LBB6_14:
	s_or_b64 exec, exec, s[2:3]
	v_add_u32_e32 v9, v7, v9
	v_sub_u32_e32 v9, v9, v10
	v_lshl_add_u32 v11, v10, 1, v11
	v_lshlrev_b32_e32 v12, 1, v9
	ds_read_u16 v11, v11
	ds_read_u16 v12, v12
	v_add_u32_e32 v6, v10, v6
	v_cmp_le_i32_e64 s[2:3], v7, v6
	v_cmp_gt_i32_e64 s[0:1], v8, v9
	s_waitcnt lgkmcnt(0)
	v_cmp_lt_f16_e64 s[4:5], v12, v11
	s_or_b64 s[2:3], s[2:3], s[4:5]
	s_and_b64 s[0:1], s[0:1], s[2:3]
	v_cndmask_b32_e64 v6, v11, v12, s[0:1]
	; wave barrier
	ds_write_b16 v2, v6
	v_and_b32_e32 v6, 16, v5
	v_and_b32_e32 v5, 15, v5
	v_min_i32_e32 v8, v3, v5
	v_min_i32_e32 v5, v3, v6
	v_add_u32_e32 v6, 8, v5
	v_min_i32_e32 v6, v3, v6
	v_add_u32_e32 v7, 8, v6
	v_min_i32_e32 v7, v3, v7
	v_sub_u32_e32 v9, v7, v6
	v_sub_u32_e32 v11, v6, v5
	;; [unrolled: 1-line block ×3, first 2 shown]
	v_cmp_ge_i32_e64 s[0:1], v8, v9
	v_cndmask_b32_e64 v9, 0, v12, s[0:1]
	v_min_i32_e32 v11, v8, v11
	v_lshlrev_b32_e32 v10, 1, v5
	v_cmp_lt_i32_e64 s[0:1], v9, v11
	; wave barrier
	s_and_saveexec_b64 s[2:3], s[0:1]
	s_cbranch_execz .LBB6_18
; %bb.15:
	v_lshlrev_b32_e32 v12, 1, v8
	v_lshl_add_u32 v12, v6, 1, v12
	s_mov_b64 s[4:5], 0
.LBB6_16:                               ; =>This Inner Loop Header: Depth=1
	v_sub_u32_e32 v13, v11, v9
	v_lshrrev_b32_e32 v13, 1, v13
	v_add_u32_e32 v13, v13, v9
	v_not_b32_e32 v15, v13
	v_lshl_add_u32 v14, v13, 1, v10
	v_lshl_add_u32 v15, v15, 1, v12
	ds_read_u16 v14, v14
	ds_read_u16 v15, v15
	v_add_u32_e32 v16, 1, v13
	s_waitcnt lgkmcnt(0)
	v_cmp_lt_f16_e64 s[0:1], v15, v14
	v_cndmask_b32_e64 v11, v11, v13, s[0:1]
	v_cndmask_b32_e64 v9, v16, v9, s[0:1]
	v_cmp_ge_i32_e64 s[0:1], v9, v11
	s_or_b64 s[4:5], s[0:1], s[4:5]
	s_andn2_b64 exec, exec, s[4:5]
	s_cbranch_execnz .LBB6_16
; %bb.17:
	s_or_b64 exec, exec, s[4:5]
.LBB6_18:
	s_or_b64 exec, exec, s[2:3]
	v_add_u32_e32 v8, v6, v8
	v_sub_u32_e32 v8, v8, v9
	v_lshl_add_u32 v10, v9, 1, v10
	v_lshlrev_b32_e32 v11, 1, v8
	ds_read_u16 v10, v10
	ds_read_u16 v11, v11
	v_add_u32_e32 v5, v9, v5
	v_cmp_le_i32_e64 s[2:3], v6, v5
	v_cmp_gt_i32_e64 s[0:1], v7, v8
	v_min_i32_e32 v7, v3, v4
	s_waitcnt lgkmcnt(0)
	v_cmp_lt_f16_e64 s[4:5], v11, v10
	s_or_b64 s[2:3], s[2:3], s[4:5]
	s_and_b64 s[0:1], s[0:1], s[2:3]
	v_cndmask_b32_e64 v5, v10, v11, s[0:1]
	v_min_i32_e32 v4, 0, v3
	; wave barrier
	ds_write_b16 v2, v5
	v_add_u32_e32 v5, 16, v4
	v_min_i32_e32 v5, v3, v5
	v_add_u32_e32 v6, 16, v5
	v_min_i32_e32 v3, v3, v6
	v_sub_u32_e32 v6, v3, v5
	v_sub_u32_e32 v9, v5, v4
	;; [unrolled: 1-line block ×3, first 2 shown]
	v_cmp_ge_i32_e64 s[0:1], v7, v6
	v_cndmask_b32_e64 v6, 0, v10, s[0:1]
	v_min_i32_e32 v9, v7, v9
	v_lshlrev_b32_e32 v8, 1, v4
	v_cmp_lt_i32_e64 s[0:1], v6, v9
	; wave barrier
	s_and_saveexec_b64 s[2:3], s[0:1]
	s_cbranch_execnz .LBB6_21
; %bb.19:
	s_or_b64 exec, exec, s[2:3]
	s_and_saveexec_b64 s[0:1], vcc
	s_cbranch_execnz .LBB6_24
.LBB6_20:
	s_endpgm
.LBB6_21:
	v_lshlrev_b32_e32 v10, 1, v7
	v_lshl_add_u32 v10, v5, 1, v10
	s_mov_b64 s[4:5], 0
.LBB6_22:                               ; =>This Inner Loop Header: Depth=1
	v_sub_u32_e32 v11, v9, v6
	v_lshrrev_b32_e32 v11, 1, v11
	v_add_u32_e32 v11, v11, v6
	v_not_b32_e32 v13, v11
	v_lshl_add_u32 v12, v11, 1, v8
	v_lshl_add_u32 v13, v13, 1, v10
	ds_read_u16 v12, v12
	ds_read_u16 v13, v13
	v_add_u32_e32 v14, 1, v11
	s_waitcnt lgkmcnt(0)
	v_cmp_lt_f16_e64 s[0:1], v13, v12
	v_cndmask_b32_e64 v9, v9, v11, s[0:1]
	v_cndmask_b32_e64 v6, v14, v6, s[0:1]
	v_cmp_ge_i32_e64 s[0:1], v6, v9
	s_or_b64 s[4:5], s[0:1], s[4:5]
	s_andn2_b64 exec, exec, s[4:5]
	s_cbranch_execnz .LBB6_22
; %bb.23:
	s_or_b64 exec, exec, s[4:5]
	s_or_b64 exec, exec, s[2:3]
	s_and_saveexec_b64 s[0:1], vcc
	s_cbranch_execz .LBB6_20
.LBB6_24:
	v_add_u32_e32 v7, v5, v7
	v_sub_u32_e32 v7, v7, v6
	v_lshlrev_b32_e32 v9, 1, v7
	v_lshl_add_u32 v8, v6, 1, v8
	ds_read_u16 v9, v9
	ds_read_u16 v8, v8
	v_add_co_u32_e32 v0, vcc, v0, v2
	v_add_u32_e32 v2, v6, v4
	v_addc_co_u32_e32 v1, vcc, 0, v1, vcc
	v_cmp_le_i32_e64 s[0:1], v5, v2
	s_waitcnt lgkmcnt(0)
	v_cmp_lt_f16_e64 s[2:3], v9, v8
	v_cmp_gt_i32_e32 vcc, v3, v7
	s_or_b64 s[0:1], s[0:1], s[2:3]
	s_and_b64 vcc, vcc, s[0:1]
	v_cndmask_b32_e32 v2, v8, v9, vcc
	global_store_short v[0:1], v2, off
	s_endpgm
	.section	.rodata,"a",@progbits
	.p2align	6, 0x0
	.amdhsa_kernel _Z19sort_keys_segmentedILj32ELj32ELj1ELb0E6__halfN10test_utils4lessEEvPT3_PKjT4_
		.amdhsa_group_segment_fixed_size 66
		.amdhsa_private_segment_fixed_size 0
		.amdhsa_kernarg_size 20
		.amdhsa_user_sgpr_count 6
		.amdhsa_user_sgpr_private_segment_buffer 1
		.amdhsa_user_sgpr_dispatch_ptr 0
		.amdhsa_user_sgpr_queue_ptr 0
		.amdhsa_user_sgpr_kernarg_segment_ptr 1
		.amdhsa_user_sgpr_dispatch_id 0
		.amdhsa_user_sgpr_flat_scratch_init 0
		.amdhsa_user_sgpr_private_segment_size 0
		.amdhsa_uses_dynamic_stack 0
		.amdhsa_system_sgpr_private_segment_wavefront_offset 0
		.amdhsa_system_sgpr_workgroup_id_x 1
		.amdhsa_system_sgpr_workgroup_id_y 0
		.amdhsa_system_sgpr_workgroup_id_z 0
		.amdhsa_system_sgpr_workgroup_info 0
		.amdhsa_system_vgpr_workitem_id 0
		.amdhsa_next_free_vgpr 18
		.amdhsa_next_free_sgpr 8
		.amdhsa_reserve_vcc 1
		.amdhsa_reserve_flat_scratch 0
		.amdhsa_float_round_mode_32 0
		.amdhsa_float_round_mode_16_64 0
		.amdhsa_float_denorm_mode_32 3
		.amdhsa_float_denorm_mode_16_64 3
		.amdhsa_dx10_clamp 1
		.amdhsa_ieee_mode 1
		.amdhsa_fp16_overflow 0
		.amdhsa_exception_fp_ieee_invalid_op 0
		.amdhsa_exception_fp_denorm_src 0
		.amdhsa_exception_fp_ieee_div_zero 0
		.amdhsa_exception_fp_ieee_overflow 0
		.amdhsa_exception_fp_ieee_underflow 0
		.amdhsa_exception_fp_ieee_inexact 0
		.amdhsa_exception_int_div_zero 0
	.end_amdhsa_kernel
	.section	.text._Z19sort_keys_segmentedILj32ELj32ELj1ELb0E6__halfN10test_utils4lessEEvPT3_PKjT4_,"axG",@progbits,_Z19sort_keys_segmentedILj32ELj32ELj1ELb0E6__halfN10test_utils4lessEEvPT3_PKjT4_,comdat
.Lfunc_end6:
	.size	_Z19sort_keys_segmentedILj32ELj32ELj1ELb0E6__halfN10test_utils4lessEEvPT3_PKjT4_, .Lfunc_end6-_Z19sort_keys_segmentedILj32ELj32ELj1ELb0E6__halfN10test_utils4lessEEvPT3_PKjT4_
                                        ; -- End function
	.set _Z19sort_keys_segmentedILj32ELj32ELj1ELb0E6__halfN10test_utils4lessEEvPT3_PKjT4_.num_vgpr, 18
	.set _Z19sort_keys_segmentedILj32ELj32ELj1ELb0E6__halfN10test_utils4lessEEvPT3_PKjT4_.num_agpr, 0
	.set _Z19sort_keys_segmentedILj32ELj32ELj1ELb0E6__halfN10test_utils4lessEEvPT3_PKjT4_.numbered_sgpr, 8
	.set _Z19sort_keys_segmentedILj32ELj32ELj1ELb0E6__halfN10test_utils4lessEEvPT3_PKjT4_.num_named_barrier, 0
	.set _Z19sort_keys_segmentedILj32ELj32ELj1ELb0E6__halfN10test_utils4lessEEvPT3_PKjT4_.private_seg_size, 0
	.set _Z19sort_keys_segmentedILj32ELj32ELj1ELb0E6__halfN10test_utils4lessEEvPT3_PKjT4_.uses_vcc, 1
	.set _Z19sort_keys_segmentedILj32ELj32ELj1ELb0E6__halfN10test_utils4lessEEvPT3_PKjT4_.uses_flat_scratch, 0
	.set _Z19sort_keys_segmentedILj32ELj32ELj1ELb0E6__halfN10test_utils4lessEEvPT3_PKjT4_.has_dyn_sized_stack, 0
	.set _Z19sort_keys_segmentedILj32ELj32ELj1ELb0E6__halfN10test_utils4lessEEvPT3_PKjT4_.has_recursion, 0
	.set _Z19sort_keys_segmentedILj32ELj32ELj1ELb0E6__halfN10test_utils4lessEEvPT3_PKjT4_.has_indirect_call, 0
	.section	.AMDGPU.csdata,"",@progbits
; Kernel info:
; codeLenInByte = 1664
; TotalNumSgprs: 12
; NumVgprs: 18
; ScratchSize: 0
; MemoryBound: 0
; FloatMode: 240
; IeeeMode: 1
; LDSByteSize: 66 bytes/workgroup (compile time only)
; SGPRBlocks: 1
; VGPRBlocks: 4
; NumSGPRsForWavesPerEU: 12
; NumVGPRsForWavesPerEU: 18
; Occupancy: 10
; WaveLimiterHint : 0
; COMPUTE_PGM_RSRC2:SCRATCH_EN: 0
; COMPUTE_PGM_RSRC2:USER_SGPR: 6
; COMPUTE_PGM_RSRC2:TRAP_HANDLER: 0
; COMPUTE_PGM_RSRC2:TGID_X_EN: 1
; COMPUTE_PGM_RSRC2:TGID_Y_EN: 0
; COMPUTE_PGM_RSRC2:TGID_Z_EN: 0
; COMPUTE_PGM_RSRC2:TIDIG_COMP_CNT: 0
	.section	.text._Z19sort_keys_segmentedILj512ELj64ELj1ELb0EsN10test_utils4lessEEvPT3_PKjT4_,"axG",@progbits,_Z19sort_keys_segmentedILj512ELj64ELj1ELb0EsN10test_utils4lessEEvPT3_PKjT4_,comdat
	.protected	_Z19sort_keys_segmentedILj512ELj64ELj1ELb0EsN10test_utils4lessEEvPT3_PKjT4_ ; -- Begin function _Z19sort_keys_segmentedILj512ELj64ELj1ELb0EsN10test_utils4lessEEvPT3_PKjT4_
	.globl	_Z19sort_keys_segmentedILj512ELj64ELj1ELb0EsN10test_utils4lessEEvPT3_PKjT4_
	.p2align	8
	.type	_Z19sort_keys_segmentedILj512ELj64ELj1ELb0EsN10test_utils4lessEEvPT3_PKjT4_,@function
_Z19sort_keys_segmentedILj512ELj64ELj1ELb0EsN10test_utils4lessEEvPT3_PKjT4_: ; @_Z19sort_keys_segmentedILj512ELj64ELj1ELb0EsN10test_utils4lessEEvPT3_PKjT4_
; %bb.0:
	s_load_dwordx4 s[0:3], s[4:5], 0x0
	v_lshrrev_b32_e32 v11, 6, v0
	v_lshl_or_b32 v0, s6, 3, v11
	v_mov_b32_e32 v1, 0
	v_lshlrev_b64 v[2:3], 2, v[0:1]
	s_waitcnt lgkmcnt(0)
	v_mov_b32_e32 v4, s3
	v_add_co_u32_e32 v2, vcc, s2, v2
	v_addc_co_u32_e32 v3, vcc, v4, v3, vcc
	global_load_dword v4, v[2:3], off
	v_lshlrev_b32_e32 v0, 6, v0
	v_lshlrev_b64 v[0:1], 1, v[0:1]
	v_mbcnt_lo_u32_b32 v2, -1, 0
	v_mbcnt_hi_u32_b32 v5, -1, v2
	v_mov_b32_e32 v2, s1
	v_add_co_u32_e32 v0, vcc, s0, v0
	v_addc_co_u32_e32 v1, vcc, v2, v1, vcc
	v_lshlrev_b32_e32 v2, 1, v5
                                        ; implicit-def: $vgpr7
	s_waitcnt vmcnt(0)
	v_cmp_lt_u32_e32 vcc, v5, v4
	s_and_saveexec_b64 s[2:3], vcc
	s_cbranch_execz .LBB7_2
; %bb.1:
	v_add_co_u32_e64 v6, s[0:1], v0, v2
	v_addc_co_u32_e64 v7, s[0:1], 0, v1, s[0:1]
	global_load_ushort v7, v[6:7], off
.LBB7_2:
	s_or_b64 exec, exec, s[2:3]
	s_movk_i32 s0, 0x82
	v_mad_u32_u24 v6, v11, s0, v2
	; wave barrier
	s_waitcnt vmcnt(0)
	ds_write_b16 v6, v7
	v_and_b32_e32 v7, 0x7e, v5
	v_and_b32_e32 v8, 1, v5
	v_min_i32_e32 v7, v4, v7
	v_min_i32_e32 v10, v4, v8
	v_add_u32_e32 v8, 1, v7
	v_min_i32_e32 v8, v4, v8
	v_add_u32_e32 v9, 1, v8
	v_min_i32_e32 v9, v4, v9
	v_sub_u32_e32 v14, v9, v8
	v_lshlrev_b32_e32 v12, 1, v7
	v_mul_u32_u24_e32 v3, 0x82, v11
	v_sub_u32_e32 v13, v8, v7
	v_mad_u32_u24 v12, v11, s0, v12
	v_sub_u32_e32 v11, v10, v14
	v_cmp_ge_i32_e64 s[0:1], v10, v14
	v_cndmask_b32_e64 v11, 0, v11, s[0:1]
	v_min_i32_e32 v13, v10, v13
	v_cmp_lt_i32_e64 s[0:1], v11, v13
	; wave barrier
	s_and_saveexec_b64 s[2:3], s[0:1]
	s_cbranch_execz .LBB7_6
; %bb.3:
	v_lshlrev_b32_e32 v14, 1, v8
	v_lshlrev_b32_e32 v15, 1, v10
	v_add3_u32 v14, v3, v14, v15
	s_mov_b64 s[4:5], 0
.LBB7_4:                                ; =>This Inner Loop Header: Depth=1
	v_sub_u32_e32 v15, v13, v11
	v_lshrrev_b32_e32 v15, 1, v15
	v_add_u32_e32 v15, v15, v11
	v_not_b32_e32 v17, v15
	v_lshl_add_u32 v16, v15, 1, v12
	v_lshl_add_u32 v17, v17, 1, v14
	ds_read_u16 v16, v16
	ds_read_u16 v17, v17
	v_add_u32_e32 v18, 1, v15
	s_waitcnt lgkmcnt(0)
	v_cmp_lt_i16_e64 s[0:1], v17, v16
	v_cndmask_b32_e64 v13, v13, v15, s[0:1]
	v_cndmask_b32_e64 v11, v18, v11, s[0:1]
	v_cmp_ge_i32_e64 s[0:1], v11, v13
	s_or_b64 s[4:5], s[0:1], s[4:5]
	s_andn2_b64 exec, exec, s[4:5]
	s_cbranch_execnz .LBB7_4
; %bb.5:
	s_or_b64 exec, exec, s[4:5]
.LBB7_6:
	s_or_b64 exec, exec, s[2:3]
	v_add_u32_e32 v10, v8, v10
	v_sub_u32_e32 v10, v10, v11
	v_lshl_add_u32 v12, v11, 1, v12
	v_lshl_add_u32 v13, v10, 1, v3
	ds_read_u16 v12, v12
	ds_read_u16 v13, v13
	v_add_u32_e32 v7, v11, v7
	v_cmp_le_i32_e64 s[2:3], v8, v7
	v_cmp_gt_i32_e64 s[0:1], v9, v10
	s_waitcnt lgkmcnt(0)
	v_cmp_lt_i16_e64 s[4:5], v13, v12
	s_or_b64 s[2:3], s[2:3], s[4:5]
	s_and_b64 s[0:1], s[0:1], s[2:3]
	v_cndmask_b32_e64 v7, v12, v13, s[0:1]
	; wave barrier
	ds_write_b16 v6, v7
	v_and_b32_e32 v7, 0x7c, v5
	v_and_b32_e32 v8, 3, v5
	v_min_i32_e32 v7, v4, v7
	v_min_i32_e32 v10, v4, v8
	v_add_u32_e32 v8, 2, v7
	v_min_i32_e32 v8, v4, v8
	v_add_u32_e32 v9, 2, v8
	v_min_i32_e32 v9, v4, v9
	v_sub_u32_e32 v11, v9, v8
	v_sub_u32_e32 v13, v8, v7
	v_sub_u32_e32 v14, v10, v11
	v_cmp_ge_i32_e64 s[0:1], v10, v11
	v_cndmask_b32_e64 v11, 0, v14, s[0:1]
	v_min_i32_e32 v13, v10, v13
	v_lshl_add_u32 v12, v7, 1, v3
	v_cmp_lt_i32_e64 s[0:1], v11, v13
	; wave barrier
	s_and_saveexec_b64 s[2:3], s[0:1]
	s_cbranch_execz .LBB7_10
; %bb.7:
	v_lshlrev_b32_e32 v14, 1, v8
	v_lshlrev_b32_e32 v15, 1, v10
	v_add3_u32 v14, v3, v14, v15
	s_mov_b64 s[4:5], 0
.LBB7_8:                                ; =>This Inner Loop Header: Depth=1
	v_sub_u32_e32 v15, v13, v11
	v_lshrrev_b32_e32 v15, 1, v15
	v_add_u32_e32 v15, v15, v11
	v_not_b32_e32 v17, v15
	v_lshl_add_u32 v16, v15, 1, v12
	v_lshl_add_u32 v17, v17, 1, v14
	ds_read_u16 v16, v16
	ds_read_u16 v17, v17
	v_add_u32_e32 v18, 1, v15
	s_waitcnt lgkmcnt(0)
	v_cmp_lt_i16_e64 s[0:1], v17, v16
	v_cndmask_b32_e64 v13, v13, v15, s[0:1]
	v_cndmask_b32_e64 v11, v18, v11, s[0:1]
	v_cmp_ge_i32_e64 s[0:1], v11, v13
	s_or_b64 s[4:5], s[0:1], s[4:5]
	s_andn2_b64 exec, exec, s[4:5]
	s_cbranch_execnz .LBB7_8
; %bb.9:
	s_or_b64 exec, exec, s[4:5]
.LBB7_10:
	s_or_b64 exec, exec, s[2:3]
	v_add_u32_e32 v10, v8, v10
	v_sub_u32_e32 v10, v10, v11
	v_lshl_add_u32 v12, v11, 1, v12
	v_lshl_add_u32 v13, v10, 1, v3
	ds_read_u16 v12, v12
	ds_read_u16 v13, v13
	v_add_u32_e32 v7, v11, v7
	v_cmp_le_i32_e64 s[2:3], v8, v7
	v_cmp_gt_i32_e64 s[0:1], v9, v10
	s_waitcnt lgkmcnt(0)
	v_cmp_lt_i16_e64 s[4:5], v13, v12
	s_or_b64 s[2:3], s[2:3], s[4:5]
	s_and_b64 s[0:1], s[0:1], s[2:3]
	v_cndmask_b32_e64 v7, v12, v13, s[0:1]
	; wave barrier
	ds_write_b16 v6, v7
	v_and_b32_e32 v7, 0x78, v5
	v_and_b32_e32 v8, 7, v5
	v_min_i32_e32 v7, v4, v7
	v_min_i32_e32 v10, v4, v8
	v_add_u32_e32 v8, 4, v7
	v_min_i32_e32 v8, v4, v8
	v_add_u32_e32 v9, 4, v8
	v_min_i32_e32 v9, v4, v9
	v_sub_u32_e32 v11, v9, v8
	v_sub_u32_e32 v13, v8, v7
	v_sub_u32_e32 v14, v10, v11
	v_cmp_ge_i32_e64 s[0:1], v10, v11
	v_cndmask_b32_e64 v11, 0, v14, s[0:1]
	v_min_i32_e32 v13, v10, v13
	v_lshl_add_u32 v12, v7, 1, v3
	v_cmp_lt_i32_e64 s[0:1], v11, v13
	; wave barrier
	s_and_saveexec_b64 s[2:3], s[0:1]
	s_cbranch_execz .LBB7_14
; %bb.11:
	v_lshlrev_b32_e32 v14, 1, v8
	v_lshlrev_b32_e32 v15, 1, v10
	v_add3_u32 v14, v3, v14, v15
	s_mov_b64 s[4:5], 0
.LBB7_12:                               ; =>This Inner Loop Header: Depth=1
	v_sub_u32_e32 v15, v13, v11
	v_lshrrev_b32_e32 v15, 1, v15
	v_add_u32_e32 v15, v15, v11
	v_not_b32_e32 v17, v15
	v_lshl_add_u32 v16, v15, 1, v12
	v_lshl_add_u32 v17, v17, 1, v14
	ds_read_u16 v16, v16
	ds_read_u16 v17, v17
	v_add_u32_e32 v18, 1, v15
	s_waitcnt lgkmcnt(0)
	v_cmp_lt_i16_e64 s[0:1], v17, v16
	v_cndmask_b32_e64 v13, v13, v15, s[0:1]
	v_cndmask_b32_e64 v11, v18, v11, s[0:1]
	v_cmp_ge_i32_e64 s[0:1], v11, v13
	s_or_b64 s[4:5], s[0:1], s[4:5]
	s_andn2_b64 exec, exec, s[4:5]
	s_cbranch_execnz .LBB7_12
; %bb.13:
	s_or_b64 exec, exec, s[4:5]
.LBB7_14:
	s_or_b64 exec, exec, s[2:3]
	v_add_u32_e32 v10, v8, v10
	v_sub_u32_e32 v10, v10, v11
	v_lshl_add_u32 v12, v11, 1, v12
	v_lshl_add_u32 v13, v10, 1, v3
	ds_read_u16 v12, v12
	ds_read_u16 v13, v13
	v_add_u32_e32 v7, v11, v7
	v_cmp_le_i32_e64 s[2:3], v8, v7
	v_cmp_gt_i32_e64 s[0:1], v9, v10
	s_waitcnt lgkmcnt(0)
	v_cmp_lt_i16_e64 s[4:5], v13, v12
	s_or_b64 s[2:3], s[2:3], s[4:5]
	s_and_b64 s[0:1], s[0:1], s[2:3]
	v_cndmask_b32_e64 v7, v12, v13, s[0:1]
	; wave barrier
	ds_write_b16 v6, v7
	v_and_b32_e32 v7, 0x70, v5
	v_and_b32_e32 v8, 15, v5
	v_min_i32_e32 v7, v4, v7
	v_min_i32_e32 v10, v4, v8
	v_add_u32_e32 v8, 8, v7
	v_min_i32_e32 v8, v4, v8
	v_add_u32_e32 v9, 8, v8
	v_min_i32_e32 v9, v4, v9
	v_sub_u32_e32 v11, v9, v8
	v_sub_u32_e32 v13, v8, v7
	v_sub_u32_e32 v14, v10, v11
	v_cmp_ge_i32_e64 s[0:1], v10, v11
	v_cndmask_b32_e64 v11, 0, v14, s[0:1]
	v_min_i32_e32 v13, v10, v13
	v_lshl_add_u32 v12, v7, 1, v3
	v_cmp_lt_i32_e64 s[0:1], v11, v13
	; wave barrier
	s_and_saveexec_b64 s[2:3], s[0:1]
	s_cbranch_execz .LBB7_18
; %bb.15:
	v_lshlrev_b32_e32 v14, 1, v8
	v_lshlrev_b32_e32 v15, 1, v10
	v_add3_u32 v14, v3, v14, v15
	s_mov_b64 s[4:5], 0
.LBB7_16:                               ; =>This Inner Loop Header: Depth=1
	v_sub_u32_e32 v15, v13, v11
	v_lshrrev_b32_e32 v15, 1, v15
	v_add_u32_e32 v15, v15, v11
	v_not_b32_e32 v17, v15
	v_lshl_add_u32 v16, v15, 1, v12
	v_lshl_add_u32 v17, v17, 1, v14
	ds_read_u16 v16, v16
	ds_read_u16 v17, v17
	v_add_u32_e32 v18, 1, v15
	s_waitcnt lgkmcnt(0)
	v_cmp_lt_i16_e64 s[0:1], v17, v16
	v_cndmask_b32_e64 v13, v13, v15, s[0:1]
	v_cndmask_b32_e64 v11, v18, v11, s[0:1]
	v_cmp_ge_i32_e64 s[0:1], v11, v13
	s_or_b64 s[4:5], s[0:1], s[4:5]
	s_andn2_b64 exec, exec, s[4:5]
	s_cbranch_execnz .LBB7_16
; %bb.17:
	s_or_b64 exec, exec, s[4:5]
.LBB7_18:
	s_or_b64 exec, exec, s[2:3]
	v_add_u32_e32 v10, v8, v10
	v_sub_u32_e32 v10, v10, v11
	v_lshl_add_u32 v12, v11, 1, v12
	v_lshl_add_u32 v13, v10, 1, v3
	ds_read_u16 v12, v12
	ds_read_u16 v13, v13
	v_add_u32_e32 v7, v11, v7
	v_cmp_le_i32_e64 s[2:3], v8, v7
	v_cmp_gt_i32_e64 s[0:1], v9, v10
	s_waitcnt lgkmcnt(0)
	v_cmp_lt_i16_e64 s[4:5], v13, v12
	s_or_b64 s[2:3], s[2:3], s[4:5]
	s_and_b64 s[0:1], s[0:1], s[2:3]
	v_cndmask_b32_e64 v7, v12, v13, s[0:1]
	; wave barrier
	ds_write_b16 v6, v7
	v_and_b32_e32 v7, 0x60, v5
	v_and_b32_e32 v8, 31, v5
	v_min_i32_e32 v7, v4, v7
	v_min_i32_e32 v10, v4, v8
	v_add_u32_e32 v8, 16, v7
	v_min_i32_e32 v8, v4, v8
	v_add_u32_e32 v9, 16, v8
	v_min_i32_e32 v9, v4, v9
	v_sub_u32_e32 v11, v9, v8
	v_sub_u32_e32 v13, v8, v7
	v_sub_u32_e32 v14, v10, v11
	v_cmp_ge_i32_e64 s[0:1], v10, v11
	v_cndmask_b32_e64 v11, 0, v14, s[0:1]
	v_min_i32_e32 v13, v10, v13
	v_lshl_add_u32 v12, v7, 1, v3
	v_cmp_lt_i32_e64 s[0:1], v11, v13
	; wave barrier
	s_and_saveexec_b64 s[2:3], s[0:1]
	s_cbranch_execz .LBB7_22
; %bb.19:
	v_lshlrev_b32_e32 v14, 1, v8
	v_lshlrev_b32_e32 v15, 1, v10
	v_add3_u32 v14, v3, v14, v15
	s_mov_b64 s[4:5], 0
.LBB7_20:                               ; =>This Inner Loop Header: Depth=1
	v_sub_u32_e32 v15, v13, v11
	v_lshrrev_b32_e32 v15, 1, v15
	v_add_u32_e32 v15, v15, v11
	v_not_b32_e32 v17, v15
	v_lshl_add_u32 v16, v15, 1, v12
	v_lshl_add_u32 v17, v17, 1, v14
	ds_read_u16 v16, v16
	ds_read_u16 v17, v17
	v_add_u32_e32 v18, 1, v15
	s_waitcnt lgkmcnt(0)
	v_cmp_lt_i16_e64 s[0:1], v17, v16
	v_cndmask_b32_e64 v13, v13, v15, s[0:1]
	v_cndmask_b32_e64 v11, v18, v11, s[0:1]
	v_cmp_ge_i32_e64 s[0:1], v11, v13
	s_or_b64 s[4:5], s[0:1], s[4:5]
	s_andn2_b64 exec, exec, s[4:5]
	s_cbranch_execnz .LBB7_20
; %bb.21:
	s_or_b64 exec, exec, s[4:5]
.LBB7_22:
	s_or_b64 exec, exec, s[2:3]
	v_add_u32_e32 v10, v8, v10
	v_sub_u32_e32 v10, v10, v11
	v_lshl_add_u32 v12, v11, 1, v12
	v_lshl_add_u32 v13, v10, 1, v3
	ds_read_u16 v12, v12
	ds_read_u16 v13, v13
	v_add_u32_e32 v7, v11, v7
	v_cmp_le_i32_e64 s[2:3], v8, v7
	v_cmp_gt_i32_e64 s[0:1], v9, v10
	s_waitcnt lgkmcnt(0)
	v_cmp_lt_i16_e64 s[4:5], v13, v12
	s_or_b64 s[2:3], s[2:3], s[4:5]
	s_and_b64 s[0:1], s[0:1], s[2:3]
	v_cndmask_b32_e64 v7, v12, v13, s[0:1]
	; wave barrier
	ds_write_b16 v6, v7
	v_and_b32_e32 v6, 64, v5
	v_and_b32_e32 v5, 63, v5
	v_min_i32_e32 v8, v4, v5
	v_min_i32_e32 v5, v4, v6
	v_add_u32_e32 v6, 32, v5
	v_min_i32_e32 v6, v4, v6
	v_add_u32_e32 v7, 32, v6
	v_min_i32_e32 v4, v4, v7
	v_sub_u32_e32 v7, v4, v6
	v_sub_u32_e32 v10, v6, v5
	;; [unrolled: 1-line block ×3, first 2 shown]
	v_cmp_ge_i32_e64 s[0:1], v8, v7
	v_cndmask_b32_e64 v7, 0, v11, s[0:1]
	v_min_i32_e32 v10, v8, v10
	v_lshl_add_u32 v9, v5, 1, v3
	v_cmp_lt_i32_e64 s[0:1], v7, v10
	; wave barrier
	s_and_saveexec_b64 s[2:3], s[0:1]
	s_cbranch_execnz .LBB7_25
; %bb.23:
	s_or_b64 exec, exec, s[2:3]
	s_and_saveexec_b64 s[0:1], vcc
	s_cbranch_execnz .LBB7_28
.LBB7_24:
	s_endpgm
.LBB7_25:
	v_lshlrev_b32_e32 v11, 1, v6
	v_lshlrev_b32_e32 v12, 1, v8
	v_add3_u32 v11, v3, v11, v12
	s_mov_b64 s[4:5], 0
.LBB7_26:                               ; =>This Inner Loop Header: Depth=1
	v_sub_u32_e32 v12, v10, v7
	v_lshrrev_b32_e32 v12, 1, v12
	v_add_u32_e32 v12, v12, v7
	v_not_b32_e32 v14, v12
	v_lshl_add_u32 v13, v12, 1, v9
	v_lshl_add_u32 v14, v14, 1, v11
	ds_read_u16 v13, v13
	ds_read_u16 v14, v14
	v_add_u32_e32 v15, 1, v12
	s_waitcnt lgkmcnt(0)
	v_cmp_lt_i16_e64 s[0:1], v14, v13
	v_cndmask_b32_e64 v10, v10, v12, s[0:1]
	v_cndmask_b32_e64 v7, v15, v7, s[0:1]
	v_cmp_ge_i32_e64 s[0:1], v7, v10
	s_or_b64 s[4:5], s[0:1], s[4:5]
	s_andn2_b64 exec, exec, s[4:5]
	s_cbranch_execnz .LBB7_26
; %bb.27:
	s_or_b64 exec, exec, s[4:5]
	s_or_b64 exec, exec, s[2:3]
	s_and_saveexec_b64 s[0:1], vcc
	s_cbranch_execz .LBB7_24
.LBB7_28:
	v_add_u32_e32 v8, v6, v8
	v_sub_u32_e32 v8, v8, v7
	v_lshl_add_u32 v3, v8, 1, v3
	v_lshl_add_u32 v9, v7, 1, v9
	ds_read_u16 v3, v3
	ds_read_u16 v9, v9
	v_add_co_u32_e32 v0, vcc, v0, v2
	v_add_u32_e32 v2, v7, v5
	v_addc_co_u32_e32 v1, vcc, 0, v1, vcc
	v_cmp_le_i32_e64 s[0:1], v6, v2
	s_waitcnt lgkmcnt(0)
	v_cmp_lt_i16_e64 s[2:3], v3, v9
	v_cmp_gt_i32_e32 vcc, v4, v8
	s_or_b64 s[0:1], s[0:1], s[2:3]
	s_and_b64 vcc, vcc, s[0:1]
	v_cndmask_b32_e32 v2, v9, v3, vcc
	global_store_short v[0:1], v2, off
	s_endpgm
	.section	.rodata,"a",@progbits
	.p2align	6, 0x0
	.amdhsa_kernel _Z19sort_keys_segmentedILj512ELj64ELj1ELb0EsN10test_utils4lessEEvPT3_PKjT4_
		.amdhsa_group_segment_fixed_size 1040
		.amdhsa_private_segment_fixed_size 0
		.amdhsa_kernarg_size 20
		.amdhsa_user_sgpr_count 6
		.amdhsa_user_sgpr_private_segment_buffer 1
		.amdhsa_user_sgpr_dispatch_ptr 0
		.amdhsa_user_sgpr_queue_ptr 0
		.amdhsa_user_sgpr_kernarg_segment_ptr 1
		.amdhsa_user_sgpr_dispatch_id 0
		.amdhsa_user_sgpr_flat_scratch_init 0
		.amdhsa_user_sgpr_private_segment_size 0
		.amdhsa_uses_dynamic_stack 0
		.amdhsa_system_sgpr_private_segment_wavefront_offset 0
		.amdhsa_system_sgpr_workgroup_id_x 1
		.amdhsa_system_sgpr_workgroup_id_y 0
		.amdhsa_system_sgpr_workgroup_id_z 0
		.amdhsa_system_sgpr_workgroup_info 0
		.amdhsa_system_vgpr_workitem_id 0
		.amdhsa_next_free_vgpr 19
		.amdhsa_next_free_sgpr 7
		.amdhsa_reserve_vcc 1
		.amdhsa_reserve_flat_scratch 0
		.amdhsa_float_round_mode_32 0
		.amdhsa_float_round_mode_16_64 0
		.amdhsa_float_denorm_mode_32 3
		.amdhsa_float_denorm_mode_16_64 3
		.amdhsa_dx10_clamp 1
		.amdhsa_ieee_mode 1
		.amdhsa_fp16_overflow 0
		.amdhsa_exception_fp_ieee_invalid_op 0
		.amdhsa_exception_fp_denorm_src 0
		.amdhsa_exception_fp_ieee_div_zero 0
		.amdhsa_exception_fp_ieee_overflow 0
		.amdhsa_exception_fp_ieee_underflow 0
		.amdhsa_exception_fp_ieee_inexact 0
		.amdhsa_exception_int_div_zero 0
	.end_amdhsa_kernel
	.section	.text._Z19sort_keys_segmentedILj512ELj64ELj1ELb0EsN10test_utils4lessEEvPT3_PKjT4_,"axG",@progbits,_Z19sort_keys_segmentedILj512ELj64ELj1ELb0EsN10test_utils4lessEEvPT3_PKjT4_,comdat
.Lfunc_end7:
	.size	_Z19sort_keys_segmentedILj512ELj64ELj1ELb0EsN10test_utils4lessEEvPT3_PKjT4_, .Lfunc_end7-_Z19sort_keys_segmentedILj512ELj64ELj1ELb0EsN10test_utils4lessEEvPT3_PKjT4_
                                        ; -- End function
	.set _Z19sort_keys_segmentedILj512ELj64ELj1ELb0EsN10test_utils4lessEEvPT3_PKjT4_.num_vgpr, 19
	.set _Z19sort_keys_segmentedILj512ELj64ELj1ELb0EsN10test_utils4lessEEvPT3_PKjT4_.num_agpr, 0
	.set _Z19sort_keys_segmentedILj512ELj64ELj1ELb0EsN10test_utils4lessEEvPT3_PKjT4_.numbered_sgpr, 7
	.set _Z19sort_keys_segmentedILj512ELj64ELj1ELb0EsN10test_utils4lessEEvPT3_PKjT4_.num_named_barrier, 0
	.set _Z19sort_keys_segmentedILj512ELj64ELj1ELb0EsN10test_utils4lessEEvPT3_PKjT4_.private_seg_size, 0
	.set _Z19sort_keys_segmentedILj512ELj64ELj1ELb0EsN10test_utils4lessEEvPT3_PKjT4_.uses_vcc, 1
	.set _Z19sort_keys_segmentedILj512ELj64ELj1ELb0EsN10test_utils4lessEEvPT3_PKjT4_.uses_flat_scratch, 0
	.set _Z19sort_keys_segmentedILj512ELj64ELj1ELb0EsN10test_utils4lessEEvPT3_PKjT4_.has_dyn_sized_stack, 0
	.set _Z19sort_keys_segmentedILj512ELj64ELj1ELb0EsN10test_utils4lessEEvPT3_PKjT4_.has_recursion, 0
	.set _Z19sort_keys_segmentedILj512ELj64ELj1ELb0EsN10test_utils4lessEEvPT3_PKjT4_.has_indirect_call, 0
	.section	.AMDGPU.csdata,"",@progbits
; Kernel info:
; codeLenInByte = 2100
; TotalNumSgprs: 11
; NumVgprs: 19
; ScratchSize: 0
; MemoryBound: 0
; FloatMode: 240
; IeeeMode: 1
; LDSByteSize: 1040 bytes/workgroup (compile time only)
; SGPRBlocks: 1
; VGPRBlocks: 4
; NumSGPRsForWavesPerEU: 11
; NumVGPRsForWavesPerEU: 19
; Occupancy: 10
; WaveLimiterHint : 0
; COMPUTE_PGM_RSRC2:SCRATCH_EN: 0
; COMPUTE_PGM_RSRC2:USER_SGPR: 6
; COMPUTE_PGM_RSRC2:TRAP_HANDLER: 0
; COMPUTE_PGM_RSRC2:TGID_X_EN: 1
; COMPUTE_PGM_RSRC2:TGID_Y_EN: 0
; COMPUTE_PGM_RSRC2:TGID_Z_EN: 0
; COMPUTE_PGM_RSRC2:TIDIG_COMP_CNT: 0
	.section	.text._Z19sort_keys_segmentedILj32ELj32ELj1ELb0EdN10test_utils4lessEEvPT3_PKjT4_,"axG",@progbits,_Z19sort_keys_segmentedILj32ELj32ELj1ELb0EdN10test_utils4lessEEvPT3_PKjT4_,comdat
	.protected	_Z19sort_keys_segmentedILj32ELj32ELj1ELb0EdN10test_utils4lessEEvPT3_PKjT4_ ; -- Begin function _Z19sort_keys_segmentedILj32ELj32ELj1ELb0EdN10test_utils4lessEEvPT3_PKjT4_
	.globl	_Z19sort_keys_segmentedILj32ELj32ELj1ELb0EdN10test_utils4lessEEvPT3_PKjT4_
	.p2align	8
	.type	_Z19sort_keys_segmentedILj32ELj32ELj1ELb0EdN10test_utils4lessEEvPT3_PKjT4_,@function
_Z19sort_keys_segmentedILj32ELj32ELj1ELb0EdN10test_utils4lessEEvPT3_PKjT4_: ; @_Z19sort_keys_segmentedILj32ELj32ELj1ELb0EdN10test_utils4lessEEvPT3_PKjT4_
; %bb.0:
	s_load_dwordx4 s[0:3], s[4:5], 0x0
	s_mov_b32 s7, 0
	s_lshl_b64 s[4:5], s[6:7], 2
	v_mov_b32_e32 v0, 0
                                        ; implicit-def: $vgpr2_vgpr3
	s_waitcnt lgkmcnt(0)
	s_add_u32 s2, s2, s4
	s_addc_u32 s3, s3, s5
	global_load_dword v5, v0, s[2:3]
	s_lshl_b32 s6, s6, 5
	v_mbcnt_lo_u32_b32 v0, -1, 0
	s_lshl_b64 s[2:3], s[6:7], 3
	v_mbcnt_hi_u32_b32 v7, -1, v0
	s_add_u32 s0, s0, s2
	v_and_b32_e32 v6, 31, v7
	s_addc_u32 s1, s1, s3
	v_mov_b32_e32 v0, s0
	v_mov_b32_e32 v1, s1
	v_lshlrev_b32_e32 v4, 3, v6
	s_waitcnt vmcnt(0)
	v_cmp_lt_u32_e32 vcc, v6, v5
	s_and_saveexec_b64 s[2:3], vcc
	s_cbranch_execz .LBB8_2
; %bb.1:
	v_add_co_u32_e64 v2, s[0:1], v0, v4
	v_addc_co_u32_e64 v3, s[0:1], 0, v1, s[0:1]
	global_load_dwordx2 v[2:3], v[2:3], off
.LBB8_2:
	s_or_b64 exec, exec, s[2:3]
	; wave barrier
	s_waitcnt vmcnt(0)
	ds_write_b64 v4, v[2:3]
	v_and_b32_e32 v2, 30, v7
	v_min_i32_e32 v8, v5, v2
	v_add_u32_e32 v2, 1, v8
	v_and_b32_e32 v3, 1, v7
	v_min_i32_e32 v2, v5, v2
	v_min_i32_e32 v9, v5, v3
	v_add_u32_e32 v3, 1, v2
	v_min_i32_e32 v3, v5, v3
	v_sub_u32_e32 v10, v3, v2
	v_sub_u32_e32 v12, v2, v8
	;; [unrolled: 1-line block ×3, first 2 shown]
	v_cmp_ge_i32_e64 s[0:1], v9, v10
	v_cndmask_b32_e64 v10, 0, v13, s[0:1]
	v_min_i32_e32 v12, v9, v12
	v_lshlrev_b32_e32 v11, 3, v8
	v_cmp_lt_i32_e64 s[0:1], v10, v12
	; wave barrier
	s_and_saveexec_b64 s[2:3], s[0:1]
	s_cbranch_execz .LBB8_6
; %bb.3:
	v_lshlrev_b32_e32 v13, 3, v9
	v_lshl_add_u32 v13, v2, 3, v13
	s_mov_b64 s[4:5], 0
.LBB8_4:                                ; =>This Inner Loop Header: Depth=1
	v_sub_u32_e32 v14, v12, v10
	v_lshrrev_b32_e32 v14, 1, v14
	v_add_u32_e32 v18, v14, v10
	v_not_b32_e32 v15, v18
	v_lshl_add_u32 v14, v18, 3, v11
	v_lshl_add_u32 v16, v15, 3, v13
	ds_read_b64 v[14:15], v14
	ds_read_b64 v[16:17], v16
	s_waitcnt lgkmcnt(0)
	v_cmp_lt_f64_e64 s[0:1], v[16:17], v[14:15]
	v_add_u32_e32 v14, 1, v18
	v_cndmask_b32_e64 v12, v12, v18, s[0:1]
	v_cndmask_b32_e64 v10, v14, v10, s[0:1]
	v_cmp_ge_i32_e64 s[0:1], v10, v12
	s_or_b64 s[4:5], s[0:1], s[4:5]
	s_andn2_b64 exec, exec, s[4:5]
	s_cbranch_execnz .LBB8_4
; %bb.5:
	s_or_b64 exec, exec, s[4:5]
.LBB8_6:
	s_or_b64 exec, exec, s[2:3]
	v_add_u32_e32 v9, v2, v9
	v_sub_u32_e32 v9, v9, v10
	v_lshl_add_u32 v11, v10, 3, v11
	v_lshlrev_b32_e32 v13, 3, v9
	ds_read_b64 v[11:12], v11
	ds_read_b64 v[13:14], v13
	v_add_u32_e32 v8, v10, v8
	v_cmp_le_i32_e64 s[2:3], v2, v8
	v_cmp_gt_i32_e64 s[4:5], v3, v9
	v_and_b32_e32 v10, 28, v7
	s_waitcnt lgkmcnt(0)
	v_cmp_lt_f64_e64 s[0:1], v[13:14], v[11:12]
	; wave barrier
	v_min_i32_e32 v8, v5, v10
	s_or_b64 s[0:1], s[2:3], s[0:1]
	s_and_b64 s[0:1], s[4:5], s[0:1]
	v_cndmask_b32_e64 v3, v12, v14, s[0:1]
	v_cndmask_b32_e64 v2, v11, v13, s[0:1]
	ds_write_b64 v4, v[2:3]
	v_and_b32_e32 v2, 3, v7
	v_min_i32_e32 v9, v5, v2
	v_add_u32_e32 v2, 2, v8
	v_min_i32_e32 v2, v5, v2
	v_add_u32_e32 v3, 2, v2
	v_min_i32_e32 v3, v5, v3
	v_sub_u32_e32 v10, v3, v2
	v_sub_u32_e32 v12, v2, v8
	;; [unrolled: 1-line block ×3, first 2 shown]
	v_cmp_ge_i32_e64 s[0:1], v9, v10
	v_cndmask_b32_e64 v10, 0, v13, s[0:1]
	v_min_i32_e32 v12, v9, v12
	v_lshlrev_b32_e32 v11, 3, v8
	v_cmp_lt_i32_e64 s[0:1], v10, v12
	; wave barrier
	s_and_saveexec_b64 s[2:3], s[0:1]
	s_cbranch_execz .LBB8_10
; %bb.7:
	v_lshlrev_b32_e32 v13, 3, v9
	v_lshl_add_u32 v13, v2, 3, v13
	s_mov_b64 s[4:5], 0
.LBB8_8:                                ; =>This Inner Loop Header: Depth=1
	v_sub_u32_e32 v14, v12, v10
	v_lshrrev_b32_e32 v14, 1, v14
	v_add_u32_e32 v18, v14, v10
	v_not_b32_e32 v15, v18
	v_lshl_add_u32 v14, v18, 3, v11
	v_lshl_add_u32 v16, v15, 3, v13
	ds_read_b64 v[14:15], v14
	ds_read_b64 v[16:17], v16
	s_waitcnt lgkmcnt(0)
	v_cmp_lt_f64_e64 s[0:1], v[16:17], v[14:15]
	v_add_u32_e32 v14, 1, v18
	v_cndmask_b32_e64 v12, v12, v18, s[0:1]
	v_cndmask_b32_e64 v10, v14, v10, s[0:1]
	v_cmp_ge_i32_e64 s[0:1], v10, v12
	s_or_b64 s[4:5], s[0:1], s[4:5]
	s_andn2_b64 exec, exec, s[4:5]
	s_cbranch_execnz .LBB8_8
; %bb.9:
	s_or_b64 exec, exec, s[4:5]
.LBB8_10:
	s_or_b64 exec, exec, s[2:3]
	v_add_u32_e32 v9, v2, v9
	v_sub_u32_e32 v9, v9, v10
	v_lshl_add_u32 v11, v10, 3, v11
	v_lshlrev_b32_e32 v13, 3, v9
	ds_read_b64 v[11:12], v11
	ds_read_b64 v[13:14], v13
	v_add_u32_e32 v8, v10, v8
	v_cmp_le_i32_e64 s[2:3], v2, v8
	v_cmp_gt_i32_e64 s[4:5], v3, v9
	v_and_b32_e32 v10, 24, v7
	s_waitcnt lgkmcnt(0)
	v_cmp_lt_f64_e64 s[0:1], v[13:14], v[11:12]
	; wave barrier
	v_min_i32_e32 v8, v5, v10
	s_or_b64 s[0:1], s[2:3], s[0:1]
	s_and_b64 s[0:1], s[4:5], s[0:1]
	v_cndmask_b32_e64 v3, v12, v14, s[0:1]
	v_cndmask_b32_e64 v2, v11, v13, s[0:1]
	ds_write_b64 v4, v[2:3]
	v_and_b32_e32 v2, 7, v7
	v_min_i32_e32 v9, v5, v2
	v_add_u32_e32 v2, 4, v8
	v_min_i32_e32 v2, v5, v2
	v_add_u32_e32 v3, 4, v2
	v_min_i32_e32 v3, v5, v3
	v_sub_u32_e32 v10, v3, v2
	v_sub_u32_e32 v12, v2, v8
	;; [unrolled: 1-line block ×3, first 2 shown]
	v_cmp_ge_i32_e64 s[0:1], v9, v10
	v_cndmask_b32_e64 v10, 0, v13, s[0:1]
	v_min_i32_e32 v12, v9, v12
	v_lshlrev_b32_e32 v11, 3, v8
	v_cmp_lt_i32_e64 s[0:1], v10, v12
	; wave barrier
	s_and_saveexec_b64 s[2:3], s[0:1]
	s_cbranch_execz .LBB8_14
; %bb.11:
	v_lshlrev_b32_e32 v13, 3, v9
	v_lshl_add_u32 v13, v2, 3, v13
	s_mov_b64 s[4:5], 0
.LBB8_12:                               ; =>This Inner Loop Header: Depth=1
	v_sub_u32_e32 v14, v12, v10
	v_lshrrev_b32_e32 v14, 1, v14
	v_add_u32_e32 v18, v14, v10
	v_not_b32_e32 v15, v18
	v_lshl_add_u32 v14, v18, 3, v11
	v_lshl_add_u32 v16, v15, 3, v13
	ds_read_b64 v[14:15], v14
	ds_read_b64 v[16:17], v16
	s_waitcnt lgkmcnt(0)
	v_cmp_lt_f64_e64 s[0:1], v[16:17], v[14:15]
	v_add_u32_e32 v14, 1, v18
	v_cndmask_b32_e64 v12, v12, v18, s[0:1]
	v_cndmask_b32_e64 v10, v14, v10, s[0:1]
	v_cmp_ge_i32_e64 s[0:1], v10, v12
	s_or_b64 s[4:5], s[0:1], s[4:5]
	s_andn2_b64 exec, exec, s[4:5]
	s_cbranch_execnz .LBB8_12
; %bb.13:
	s_or_b64 exec, exec, s[4:5]
.LBB8_14:
	s_or_b64 exec, exec, s[2:3]
	v_add_u32_e32 v9, v2, v9
	v_sub_u32_e32 v9, v9, v10
	v_lshl_add_u32 v11, v10, 3, v11
	v_lshlrev_b32_e32 v13, 3, v9
	ds_read_b64 v[11:12], v11
	ds_read_b64 v[13:14], v13
	v_add_u32_e32 v8, v10, v8
	v_cmp_le_i32_e64 s[2:3], v2, v8
	v_cmp_gt_i32_e64 s[4:5], v3, v9
	v_and_b32_e32 v10, 16, v7
	s_waitcnt lgkmcnt(0)
	v_cmp_lt_f64_e64 s[0:1], v[13:14], v[11:12]
	; wave barrier
	s_or_b64 s[0:1], s[2:3], s[0:1]
	s_and_b64 s[0:1], s[4:5], s[0:1]
	v_cndmask_b32_e64 v3, v12, v14, s[0:1]
	v_cndmask_b32_e64 v2, v11, v13, s[0:1]
	ds_write_b64 v4, v[2:3]
	v_and_b32_e32 v2, 15, v7
	v_min_i32_e32 v3, v5, v10
	v_min_i32_e32 v8, v5, v2
	v_add_u32_e32 v2, 8, v3
	v_min_i32_e32 v2, v5, v2
	v_add_u32_e32 v7, 8, v2
	v_min_i32_e32 v7, v5, v7
	v_sub_u32_e32 v9, v7, v2
	v_sub_u32_e32 v11, v2, v3
	;; [unrolled: 1-line block ×3, first 2 shown]
	v_cmp_ge_i32_e64 s[0:1], v8, v9
	v_cndmask_b32_e64 v9, 0, v12, s[0:1]
	v_min_i32_e32 v11, v8, v11
	v_lshlrev_b32_e32 v10, 3, v3
	v_cmp_lt_i32_e64 s[0:1], v9, v11
	; wave barrier
	s_and_saveexec_b64 s[2:3], s[0:1]
	s_cbranch_execz .LBB8_18
; %bb.15:
	v_lshlrev_b32_e32 v12, 3, v8
	v_lshl_add_u32 v12, v2, 3, v12
	s_mov_b64 s[4:5], 0
.LBB8_16:                               ; =>This Inner Loop Header: Depth=1
	v_sub_u32_e32 v13, v11, v9
	v_lshrrev_b32_e32 v13, 1, v13
	v_add_u32_e32 v17, v13, v9
	v_not_b32_e32 v14, v17
	v_lshl_add_u32 v13, v17, 3, v10
	v_lshl_add_u32 v15, v14, 3, v12
	ds_read_b64 v[13:14], v13
	ds_read_b64 v[15:16], v15
	s_waitcnt lgkmcnt(0)
	v_cmp_lt_f64_e64 s[0:1], v[15:16], v[13:14]
	v_add_u32_e32 v13, 1, v17
	v_cndmask_b32_e64 v11, v11, v17, s[0:1]
	v_cndmask_b32_e64 v9, v13, v9, s[0:1]
	v_cmp_ge_i32_e64 s[0:1], v9, v11
	s_or_b64 s[4:5], s[0:1], s[4:5]
	s_andn2_b64 exec, exec, s[4:5]
	s_cbranch_execnz .LBB8_16
; %bb.17:
	s_or_b64 exec, exec, s[4:5]
.LBB8_18:
	s_or_b64 exec, exec, s[2:3]
	v_add_u32_e32 v8, v2, v8
	v_sub_u32_e32 v8, v8, v9
	v_lshl_add_u32 v10, v9, 3, v10
	v_lshlrev_b32_e32 v12, 3, v8
	ds_read_b64 v[10:11], v10
	ds_read_b64 v[12:13], v12
	v_add_u32_e32 v9, v9, v3
	v_cmp_le_i32_e64 s[2:3], v2, v9
	v_cmp_gt_i32_e64 s[4:5], v7, v8
	v_min_i32_e32 v3, v5, v6
	s_waitcnt lgkmcnt(0)
	v_cmp_lt_f64_e64 s[0:1], v[12:13], v[10:11]
	v_min_i32_e32 v2, 0, v5
	; wave barrier
	v_lshlrev_b32_e32 v8, 3, v2
	s_or_b64 s[0:1], s[2:3], s[0:1]
	s_and_b64 s[0:1], s[4:5], s[0:1]
	v_cndmask_b32_e64 v7, v11, v13, s[0:1]
	v_cndmask_b32_e64 v6, v10, v12, s[0:1]
	ds_write_b64 v4, v[6:7]
	v_add_u32_e32 v6, 16, v2
	v_min_i32_e32 v6, v5, v6
	v_add_u32_e32 v7, 16, v6
	v_min_i32_e32 v5, v5, v7
	v_sub_u32_e32 v7, v5, v6
	v_sub_u32_e32 v9, v6, v2
	;; [unrolled: 1-line block ×3, first 2 shown]
	v_cmp_ge_i32_e64 s[0:1], v3, v7
	v_cndmask_b32_e64 v7, 0, v10, s[0:1]
	v_min_i32_e32 v9, v3, v9
	v_cmp_lt_i32_e64 s[0:1], v7, v9
	; wave barrier
	s_and_saveexec_b64 s[2:3], s[0:1]
	s_cbranch_execnz .LBB8_21
; %bb.19:
	s_or_b64 exec, exec, s[2:3]
	s_and_saveexec_b64 s[0:1], vcc
	s_cbranch_execnz .LBB8_24
.LBB8_20:
	s_endpgm
.LBB8_21:
	v_lshlrev_b32_e32 v10, 3, v3
	v_lshl_add_u32 v10, v6, 3, v10
	s_mov_b64 s[4:5], 0
.LBB8_22:                               ; =>This Inner Loop Header: Depth=1
	v_sub_u32_e32 v11, v9, v7
	v_lshrrev_b32_e32 v11, 1, v11
	v_add_u32_e32 v15, v11, v7
	v_not_b32_e32 v12, v15
	v_lshl_add_u32 v11, v15, 3, v8
	v_lshl_add_u32 v13, v12, 3, v10
	ds_read_b64 v[11:12], v11
	ds_read_b64 v[13:14], v13
	s_waitcnt lgkmcnt(0)
	v_cmp_lt_f64_e64 s[0:1], v[13:14], v[11:12]
	v_add_u32_e32 v11, 1, v15
	v_cndmask_b32_e64 v9, v9, v15, s[0:1]
	v_cndmask_b32_e64 v7, v11, v7, s[0:1]
	v_cmp_ge_i32_e64 s[0:1], v7, v9
	s_or_b64 s[4:5], s[0:1], s[4:5]
	s_andn2_b64 exec, exec, s[4:5]
	s_cbranch_execnz .LBB8_22
; %bb.23:
	s_or_b64 exec, exec, s[4:5]
	s_or_b64 exec, exec, s[2:3]
	s_and_saveexec_b64 s[0:1], vcc
	s_cbranch_execz .LBB8_20
.LBB8_24:
	v_add_u32_e32 v3, v6, v3
	v_sub_u32_e32 v3, v3, v7
	v_lshlrev_b32_e32 v9, 3, v3
	v_lshl_add_u32 v10, v7, 3, v8
	ds_read_b64 v[8:9], v9
	ds_read_b64 v[10:11], v10
	v_add_co_u32_e64 v0, s[0:1], v0, v4
	v_addc_co_u32_e64 v1, s[0:1], 0, v1, s[0:1]
	s_waitcnt lgkmcnt(0)
	v_cmp_lt_f64_e32 vcc, v[8:9], v[10:11]
	v_add_u32_e32 v2, v7, v2
	v_cmp_le_i32_e64 s[0:1], v6, v2
	v_cmp_gt_i32_e64 s[2:3], v5, v3
	s_or_b64 s[0:1], s[0:1], vcc
	s_and_b64 vcc, s[2:3], s[0:1]
	v_cndmask_b32_e32 v3, v11, v9, vcc
	v_cndmask_b32_e32 v2, v10, v8, vcc
	global_store_dwordx2 v[0:1], v[2:3], off
	s_endpgm
	.section	.rodata,"a",@progbits
	.p2align	6, 0x0
	.amdhsa_kernel _Z19sort_keys_segmentedILj32ELj32ELj1ELb0EdN10test_utils4lessEEvPT3_PKjT4_
		.amdhsa_group_segment_fixed_size 264
		.amdhsa_private_segment_fixed_size 0
		.amdhsa_kernarg_size 20
		.amdhsa_user_sgpr_count 6
		.amdhsa_user_sgpr_private_segment_buffer 1
		.amdhsa_user_sgpr_dispatch_ptr 0
		.amdhsa_user_sgpr_queue_ptr 0
		.amdhsa_user_sgpr_kernarg_segment_ptr 1
		.amdhsa_user_sgpr_dispatch_id 0
		.amdhsa_user_sgpr_flat_scratch_init 0
		.amdhsa_user_sgpr_private_segment_size 0
		.amdhsa_uses_dynamic_stack 0
		.amdhsa_system_sgpr_private_segment_wavefront_offset 0
		.amdhsa_system_sgpr_workgroup_id_x 1
		.amdhsa_system_sgpr_workgroup_id_y 0
		.amdhsa_system_sgpr_workgroup_id_z 0
		.amdhsa_system_sgpr_workgroup_info 0
		.amdhsa_system_vgpr_workitem_id 0
		.amdhsa_next_free_vgpr 19
		.amdhsa_next_free_sgpr 8
		.amdhsa_reserve_vcc 1
		.amdhsa_reserve_flat_scratch 0
		.amdhsa_float_round_mode_32 0
		.amdhsa_float_round_mode_16_64 0
		.amdhsa_float_denorm_mode_32 3
		.amdhsa_float_denorm_mode_16_64 3
		.amdhsa_dx10_clamp 1
		.amdhsa_ieee_mode 1
		.amdhsa_fp16_overflow 0
		.amdhsa_exception_fp_ieee_invalid_op 0
		.amdhsa_exception_fp_denorm_src 0
		.amdhsa_exception_fp_ieee_div_zero 0
		.amdhsa_exception_fp_ieee_overflow 0
		.amdhsa_exception_fp_ieee_underflow 0
		.amdhsa_exception_fp_ieee_inexact 0
		.amdhsa_exception_int_div_zero 0
	.end_amdhsa_kernel
	.section	.text._Z19sort_keys_segmentedILj32ELj32ELj1ELb0EdN10test_utils4lessEEvPT3_PKjT4_,"axG",@progbits,_Z19sort_keys_segmentedILj32ELj32ELj1ELb0EdN10test_utils4lessEEvPT3_PKjT4_,comdat
.Lfunc_end8:
	.size	_Z19sort_keys_segmentedILj32ELj32ELj1ELb0EdN10test_utils4lessEEvPT3_PKjT4_, .Lfunc_end8-_Z19sort_keys_segmentedILj32ELj32ELj1ELb0EdN10test_utils4lessEEvPT3_PKjT4_
                                        ; -- End function
	.set _Z19sort_keys_segmentedILj32ELj32ELj1ELb0EdN10test_utils4lessEEvPT3_PKjT4_.num_vgpr, 19
	.set _Z19sort_keys_segmentedILj32ELj32ELj1ELb0EdN10test_utils4lessEEvPT3_PKjT4_.num_agpr, 0
	.set _Z19sort_keys_segmentedILj32ELj32ELj1ELb0EdN10test_utils4lessEEvPT3_PKjT4_.numbered_sgpr, 8
	.set _Z19sort_keys_segmentedILj32ELj32ELj1ELb0EdN10test_utils4lessEEvPT3_PKjT4_.num_named_barrier, 0
	.set _Z19sort_keys_segmentedILj32ELj32ELj1ELb0EdN10test_utils4lessEEvPT3_PKjT4_.private_seg_size, 0
	.set _Z19sort_keys_segmentedILj32ELj32ELj1ELb0EdN10test_utils4lessEEvPT3_PKjT4_.uses_vcc, 1
	.set _Z19sort_keys_segmentedILj32ELj32ELj1ELb0EdN10test_utils4lessEEvPT3_PKjT4_.uses_flat_scratch, 0
	.set _Z19sort_keys_segmentedILj32ELj32ELj1ELb0EdN10test_utils4lessEEvPT3_PKjT4_.has_dyn_sized_stack, 0
	.set _Z19sort_keys_segmentedILj32ELj32ELj1ELb0EdN10test_utils4lessEEvPT3_PKjT4_.has_recursion, 0
	.set _Z19sort_keys_segmentedILj32ELj32ELj1ELb0EdN10test_utils4lessEEvPT3_PKjT4_.has_indirect_call, 0
	.section	.AMDGPU.csdata,"",@progbits
; Kernel info:
; codeLenInByte = 1708
; TotalNumSgprs: 12
; NumVgprs: 19
; ScratchSize: 0
; MemoryBound: 0
; FloatMode: 240
; IeeeMode: 1
; LDSByteSize: 264 bytes/workgroup (compile time only)
; SGPRBlocks: 1
; VGPRBlocks: 4
; NumSGPRsForWavesPerEU: 12
; NumVGPRsForWavesPerEU: 19
; Occupancy: 10
; WaveLimiterHint : 0
; COMPUTE_PGM_RSRC2:SCRATCH_EN: 0
; COMPUTE_PGM_RSRC2:USER_SGPR: 6
; COMPUTE_PGM_RSRC2:TRAP_HANDLER: 0
; COMPUTE_PGM_RSRC2:TGID_X_EN: 1
; COMPUTE_PGM_RSRC2:TGID_Y_EN: 0
; COMPUTE_PGM_RSRC2:TGID_Z_EN: 0
; COMPUTE_PGM_RSRC2:TIDIG_COMP_CNT: 0
	.section	.text._Z19sort_keys_segmentedILj64ELj16ELj1ELb0EfN10test_utils4lessEEvPT3_PKjT4_,"axG",@progbits,_Z19sort_keys_segmentedILj64ELj16ELj1ELb0EfN10test_utils4lessEEvPT3_PKjT4_,comdat
	.protected	_Z19sort_keys_segmentedILj64ELj16ELj1ELb0EfN10test_utils4lessEEvPT3_PKjT4_ ; -- Begin function _Z19sort_keys_segmentedILj64ELj16ELj1ELb0EfN10test_utils4lessEEvPT3_PKjT4_
	.globl	_Z19sort_keys_segmentedILj64ELj16ELj1ELb0EfN10test_utils4lessEEvPT3_PKjT4_
	.p2align	8
	.type	_Z19sort_keys_segmentedILj64ELj16ELj1ELb0EfN10test_utils4lessEEvPT3_PKjT4_,@function
_Z19sort_keys_segmentedILj64ELj16ELj1ELb0EfN10test_utils4lessEEvPT3_PKjT4_: ; @_Z19sort_keys_segmentedILj64ELj16ELj1ELb0EfN10test_utils4lessEEvPT3_PKjT4_
; %bb.0:
	s_load_dwordx4 s[0:3], s[4:5], 0x0
	v_lshrrev_b32_e32 v11, 4, v0
	v_lshl_or_b32 v0, s6, 2, v11
	v_mov_b32_e32 v1, 0
	v_lshlrev_b64 v[2:3], 2, v[0:1]
	s_waitcnt lgkmcnt(0)
	v_mov_b32_e32 v4, s3
	v_add_co_u32_e32 v2, vcc, s2, v2
	v_addc_co_u32_e32 v3, vcc, v4, v3, vcc
	global_load_dword v4, v[2:3], off
	v_lshlrev_b32_e32 v0, 4, v0
	v_lshlrev_b64 v[0:1], 2, v[0:1]
	v_mbcnt_lo_u32_b32 v2, -1, 0
	v_mbcnt_hi_u32_b32 v7, -1, v2
	v_mov_b32_e32 v2, s1
	v_add_co_u32_e32 v0, vcc, s0, v0
	v_and_b32_e32 v5, 15, v7
	v_addc_co_u32_e32 v1, vcc, v2, v1, vcc
	v_lshlrev_b32_e32 v2, 2, v5
                                        ; implicit-def: $vgpr8
	s_waitcnt vmcnt(0)
	v_cmp_lt_u32_e32 vcc, v5, v4
	s_and_saveexec_b64 s[2:3], vcc
	s_cbranch_execz .LBB9_2
; %bb.1:
	v_add_co_u32_e64 v8, s[0:1], v0, v2
	v_addc_co_u32_e64 v9, s[0:1], 0, v1, s[0:1]
	global_load_dword v8, v[8:9], off
.LBB9_2:
	s_or_b64 exec, exec, s[2:3]
	s_movk_i32 s0, 0x44
	v_mad_u32_u24 v6, v11, s0, v2
	; wave barrier
	s_waitcnt vmcnt(0)
	ds_write_b32 v6, v8
	v_and_b32_e32 v8, 14, v7
	v_and_b32_e32 v9, 1, v7
	v_min_i32_e32 v8, v4, v8
	v_min_i32_e32 v12, v4, v9
	v_add_u32_e32 v9, 1, v8
	v_min_i32_e32 v9, v4, v9
	v_add_u32_e32 v10, 1, v9
	v_min_i32_e32 v10, v4, v10
	v_sub_u32_e32 v15, v10, v9
	v_lshlrev_b32_e32 v13, 2, v8
	v_mul_u32_u24_e32 v3, 0x44, v11
	v_sub_u32_e32 v14, v9, v8
	v_mad_u32_u24 v13, v11, s0, v13
	v_sub_u32_e32 v11, v12, v15
	v_cmp_ge_i32_e64 s[0:1], v12, v15
	v_cndmask_b32_e64 v11, 0, v11, s[0:1]
	v_min_i32_e32 v14, v12, v14
	v_cmp_lt_i32_e64 s[0:1], v11, v14
	; wave barrier
	s_and_saveexec_b64 s[2:3], s[0:1]
	s_cbranch_execz .LBB9_6
; %bb.3:
	v_lshlrev_b32_e32 v15, 2, v9
	v_lshlrev_b32_e32 v16, 2, v12
	v_add3_u32 v15, v3, v15, v16
	s_mov_b64 s[4:5], 0
.LBB9_4:                                ; =>This Inner Loop Header: Depth=1
	v_sub_u32_e32 v16, v14, v11
	v_lshrrev_b32_e32 v16, 1, v16
	v_add_u32_e32 v16, v16, v11
	v_not_b32_e32 v18, v16
	v_lshl_add_u32 v17, v16, 2, v13
	v_lshl_add_u32 v18, v18, 2, v15
	ds_read_b32 v17, v17
	ds_read_b32 v18, v18
	v_add_u32_e32 v19, 1, v16
	s_waitcnt lgkmcnt(0)
	v_cmp_lt_f32_e64 s[0:1], v18, v17
	v_cndmask_b32_e64 v14, v14, v16, s[0:1]
	v_cndmask_b32_e64 v11, v19, v11, s[0:1]
	v_cmp_ge_i32_e64 s[0:1], v11, v14
	s_or_b64 s[4:5], s[0:1], s[4:5]
	s_andn2_b64 exec, exec, s[4:5]
	s_cbranch_execnz .LBB9_4
; %bb.5:
	s_or_b64 exec, exec, s[4:5]
.LBB9_6:
	s_or_b64 exec, exec, s[2:3]
	v_add_u32_e32 v12, v9, v12
	v_sub_u32_e32 v12, v12, v11
	v_lshl_add_u32 v13, v11, 2, v13
	v_lshl_add_u32 v14, v12, 2, v3
	ds_read_b32 v13, v13
	ds_read_b32 v14, v14
	v_add_u32_e32 v8, v11, v8
	v_cmp_le_i32_e64 s[2:3], v9, v8
	v_cmp_gt_i32_e64 s[0:1], v10, v12
	s_waitcnt lgkmcnt(0)
	v_cmp_lt_f32_e64 s[4:5], v14, v13
	s_or_b64 s[2:3], s[2:3], s[4:5]
	s_and_b64 s[0:1], s[0:1], s[2:3]
	v_cndmask_b32_e64 v8, v13, v14, s[0:1]
	; wave barrier
	ds_write_b32 v6, v8
	v_and_b32_e32 v8, 12, v7
	v_and_b32_e32 v9, 3, v7
	v_min_i32_e32 v8, v4, v8
	v_min_i32_e32 v11, v4, v9
	v_add_u32_e32 v9, 2, v8
	v_min_i32_e32 v9, v4, v9
	v_add_u32_e32 v10, 2, v9
	v_min_i32_e32 v10, v4, v10
	v_sub_u32_e32 v12, v10, v9
	v_sub_u32_e32 v14, v9, v8
	;; [unrolled: 1-line block ×3, first 2 shown]
	v_cmp_ge_i32_e64 s[0:1], v11, v12
	v_cndmask_b32_e64 v12, 0, v15, s[0:1]
	v_min_i32_e32 v14, v11, v14
	v_lshl_add_u32 v13, v8, 2, v3
	v_cmp_lt_i32_e64 s[0:1], v12, v14
	; wave barrier
	s_and_saveexec_b64 s[2:3], s[0:1]
	s_cbranch_execz .LBB9_10
; %bb.7:
	v_lshlrev_b32_e32 v15, 2, v9
	v_lshlrev_b32_e32 v16, 2, v11
	v_add3_u32 v15, v3, v15, v16
	s_mov_b64 s[4:5], 0
.LBB9_8:                                ; =>This Inner Loop Header: Depth=1
	v_sub_u32_e32 v16, v14, v12
	v_lshrrev_b32_e32 v16, 1, v16
	v_add_u32_e32 v16, v16, v12
	v_not_b32_e32 v18, v16
	v_lshl_add_u32 v17, v16, 2, v13
	v_lshl_add_u32 v18, v18, 2, v15
	ds_read_b32 v17, v17
	ds_read_b32 v18, v18
	v_add_u32_e32 v19, 1, v16
	s_waitcnt lgkmcnt(0)
	v_cmp_lt_f32_e64 s[0:1], v18, v17
	v_cndmask_b32_e64 v14, v14, v16, s[0:1]
	v_cndmask_b32_e64 v12, v19, v12, s[0:1]
	v_cmp_ge_i32_e64 s[0:1], v12, v14
	s_or_b64 s[4:5], s[0:1], s[4:5]
	s_andn2_b64 exec, exec, s[4:5]
	s_cbranch_execnz .LBB9_8
; %bb.9:
	s_or_b64 exec, exec, s[4:5]
.LBB9_10:
	s_or_b64 exec, exec, s[2:3]
	v_add_u32_e32 v11, v9, v11
	v_sub_u32_e32 v11, v11, v12
	v_lshl_add_u32 v13, v12, 2, v13
	v_lshl_add_u32 v14, v11, 2, v3
	ds_read_b32 v13, v13
	ds_read_b32 v14, v14
	v_add_u32_e32 v8, v12, v8
	v_cmp_le_i32_e64 s[2:3], v9, v8
	v_cmp_gt_i32_e64 s[0:1], v10, v11
	s_waitcnt lgkmcnt(0)
	v_cmp_lt_f32_e64 s[4:5], v14, v13
	s_or_b64 s[2:3], s[2:3], s[4:5]
	s_and_b64 s[0:1], s[0:1], s[2:3]
	v_cndmask_b32_e64 v8, v13, v14, s[0:1]
	; wave barrier
	ds_write_b32 v6, v8
	v_and_b32_e32 v8, 8, v7
	v_and_b32_e32 v7, 7, v7
	v_min_i32_e32 v10, v4, v7
	v_min_i32_e32 v7, v4, v8
	v_add_u32_e32 v8, 4, v7
	v_min_i32_e32 v8, v4, v8
	v_add_u32_e32 v9, 4, v8
	v_min_i32_e32 v9, v4, v9
	v_sub_u32_e32 v11, v9, v8
	v_sub_u32_e32 v13, v8, v7
	;; [unrolled: 1-line block ×3, first 2 shown]
	v_cmp_ge_i32_e64 s[0:1], v10, v11
	v_cndmask_b32_e64 v11, 0, v14, s[0:1]
	v_min_i32_e32 v13, v10, v13
	v_lshl_add_u32 v12, v7, 2, v3
	v_cmp_lt_i32_e64 s[0:1], v11, v13
	; wave barrier
	s_and_saveexec_b64 s[2:3], s[0:1]
	s_cbranch_execz .LBB9_14
; %bb.11:
	v_lshlrev_b32_e32 v14, 2, v8
	v_lshlrev_b32_e32 v15, 2, v10
	v_add3_u32 v14, v3, v14, v15
	s_mov_b64 s[4:5], 0
.LBB9_12:                               ; =>This Inner Loop Header: Depth=1
	v_sub_u32_e32 v15, v13, v11
	v_lshrrev_b32_e32 v15, 1, v15
	v_add_u32_e32 v15, v15, v11
	v_not_b32_e32 v17, v15
	v_lshl_add_u32 v16, v15, 2, v12
	v_lshl_add_u32 v17, v17, 2, v14
	ds_read_b32 v16, v16
	ds_read_b32 v17, v17
	v_add_u32_e32 v18, 1, v15
	s_waitcnt lgkmcnt(0)
	v_cmp_lt_f32_e64 s[0:1], v17, v16
	v_cndmask_b32_e64 v13, v13, v15, s[0:1]
	v_cndmask_b32_e64 v11, v18, v11, s[0:1]
	v_cmp_ge_i32_e64 s[0:1], v11, v13
	s_or_b64 s[4:5], s[0:1], s[4:5]
	s_andn2_b64 exec, exec, s[4:5]
	s_cbranch_execnz .LBB9_12
; %bb.13:
	s_or_b64 exec, exec, s[4:5]
.LBB9_14:
	s_or_b64 exec, exec, s[2:3]
	v_add_u32_e32 v10, v8, v10
	v_sub_u32_e32 v10, v10, v11
	v_lshl_add_u32 v12, v11, 2, v12
	v_lshl_add_u32 v13, v10, 2, v3
	ds_read_b32 v12, v12
	ds_read_b32 v13, v13
	v_add_u32_e32 v7, v11, v7
	v_cmp_le_i32_e64 s[2:3], v8, v7
	v_cmp_gt_i32_e64 s[0:1], v9, v10
	v_min_i32_e32 v8, v4, v5
	s_waitcnt lgkmcnt(0)
	v_cmp_lt_f32_e64 s[4:5], v13, v12
	s_or_b64 s[2:3], s[2:3], s[4:5]
	s_and_b64 s[0:1], s[0:1], s[2:3]
	v_cndmask_b32_e64 v7, v12, v13, s[0:1]
	v_min_i32_e32 v5, 0, v4
	; wave barrier
	ds_write_b32 v6, v7
	v_add_u32_e32 v6, 8, v5
	v_min_i32_e32 v6, v4, v6
	v_add_u32_e32 v7, 8, v6
	v_min_i32_e32 v4, v4, v7
	v_sub_u32_e32 v7, v4, v6
	v_sub_u32_e32 v10, v6, v5
	;; [unrolled: 1-line block ×3, first 2 shown]
	v_cmp_ge_i32_e64 s[0:1], v8, v7
	v_cndmask_b32_e64 v7, 0, v11, s[0:1]
	v_min_i32_e32 v10, v8, v10
	v_lshl_add_u32 v9, v5, 2, v3
	v_cmp_lt_i32_e64 s[0:1], v7, v10
	; wave barrier
	s_and_saveexec_b64 s[2:3], s[0:1]
	s_cbranch_execnz .LBB9_17
; %bb.15:
	s_or_b64 exec, exec, s[2:3]
	s_and_saveexec_b64 s[0:1], vcc
	s_cbranch_execnz .LBB9_20
.LBB9_16:
	s_endpgm
.LBB9_17:
	v_lshlrev_b32_e32 v11, 2, v6
	v_lshlrev_b32_e32 v12, 2, v8
	v_add3_u32 v11, v3, v11, v12
	s_mov_b64 s[4:5], 0
.LBB9_18:                               ; =>This Inner Loop Header: Depth=1
	v_sub_u32_e32 v12, v10, v7
	v_lshrrev_b32_e32 v12, 1, v12
	v_add_u32_e32 v12, v12, v7
	v_not_b32_e32 v14, v12
	v_lshl_add_u32 v13, v12, 2, v9
	v_lshl_add_u32 v14, v14, 2, v11
	ds_read_b32 v13, v13
	ds_read_b32 v14, v14
	v_add_u32_e32 v15, 1, v12
	s_waitcnt lgkmcnt(0)
	v_cmp_lt_f32_e64 s[0:1], v14, v13
	v_cndmask_b32_e64 v10, v10, v12, s[0:1]
	v_cndmask_b32_e64 v7, v15, v7, s[0:1]
	v_cmp_ge_i32_e64 s[0:1], v7, v10
	s_or_b64 s[4:5], s[0:1], s[4:5]
	s_andn2_b64 exec, exec, s[4:5]
	s_cbranch_execnz .LBB9_18
; %bb.19:
	s_or_b64 exec, exec, s[4:5]
	s_or_b64 exec, exec, s[2:3]
	s_and_saveexec_b64 s[0:1], vcc
	s_cbranch_execz .LBB9_16
.LBB9_20:
	v_add_u32_e32 v8, v6, v8
	v_sub_u32_e32 v8, v8, v7
	v_lshl_add_u32 v3, v8, 2, v3
	v_lshl_add_u32 v9, v7, 2, v9
	ds_read_b32 v3, v3
	ds_read_b32 v9, v9
	v_add_co_u32_e32 v0, vcc, v0, v2
	v_add_u32_e32 v2, v7, v5
	v_addc_co_u32_e32 v1, vcc, 0, v1, vcc
	v_cmp_le_i32_e64 s[0:1], v6, v2
	s_waitcnt lgkmcnt(0)
	v_cmp_lt_f32_e64 s[2:3], v3, v9
	v_cmp_gt_i32_e32 vcc, v4, v8
	s_or_b64 s[0:1], s[0:1], s[2:3]
	s_and_b64 vcc, vcc, s[0:1]
	v_cndmask_b32_e32 v2, v9, v3, vcc
	global_store_dword v[0:1], v2, off
	s_endpgm
	.section	.rodata,"a",@progbits
	.p2align	6, 0x0
	.amdhsa_kernel _Z19sort_keys_segmentedILj64ELj16ELj1ELb0EfN10test_utils4lessEEvPT3_PKjT4_
		.amdhsa_group_segment_fixed_size 272
		.amdhsa_private_segment_fixed_size 0
		.amdhsa_kernarg_size 20
		.amdhsa_user_sgpr_count 6
		.amdhsa_user_sgpr_private_segment_buffer 1
		.amdhsa_user_sgpr_dispatch_ptr 0
		.amdhsa_user_sgpr_queue_ptr 0
		.amdhsa_user_sgpr_kernarg_segment_ptr 1
		.amdhsa_user_sgpr_dispatch_id 0
		.amdhsa_user_sgpr_flat_scratch_init 0
		.amdhsa_user_sgpr_private_segment_size 0
		.amdhsa_uses_dynamic_stack 0
		.amdhsa_system_sgpr_private_segment_wavefront_offset 0
		.amdhsa_system_sgpr_workgroup_id_x 1
		.amdhsa_system_sgpr_workgroup_id_y 0
		.amdhsa_system_sgpr_workgroup_id_z 0
		.amdhsa_system_sgpr_workgroup_info 0
		.amdhsa_system_vgpr_workitem_id 0
		.amdhsa_next_free_vgpr 20
		.amdhsa_next_free_sgpr 7
		.amdhsa_reserve_vcc 1
		.amdhsa_reserve_flat_scratch 0
		.amdhsa_float_round_mode_32 0
		.amdhsa_float_round_mode_16_64 0
		.amdhsa_float_denorm_mode_32 3
		.amdhsa_float_denorm_mode_16_64 3
		.amdhsa_dx10_clamp 1
		.amdhsa_ieee_mode 1
		.amdhsa_fp16_overflow 0
		.amdhsa_exception_fp_ieee_invalid_op 0
		.amdhsa_exception_fp_denorm_src 0
		.amdhsa_exception_fp_ieee_div_zero 0
		.amdhsa_exception_fp_ieee_overflow 0
		.amdhsa_exception_fp_ieee_underflow 0
		.amdhsa_exception_fp_ieee_inexact 0
		.amdhsa_exception_int_div_zero 0
	.end_amdhsa_kernel
	.section	.text._Z19sort_keys_segmentedILj64ELj16ELj1ELb0EfN10test_utils4lessEEvPT3_PKjT4_,"axG",@progbits,_Z19sort_keys_segmentedILj64ELj16ELj1ELb0EfN10test_utils4lessEEvPT3_PKjT4_,comdat
.Lfunc_end9:
	.size	_Z19sort_keys_segmentedILj64ELj16ELj1ELb0EfN10test_utils4lessEEvPT3_PKjT4_, .Lfunc_end9-_Z19sort_keys_segmentedILj64ELj16ELj1ELb0EfN10test_utils4lessEEvPT3_PKjT4_
                                        ; -- End function
	.set _Z19sort_keys_segmentedILj64ELj16ELj1ELb0EfN10test_utils4lessEEvPT3_PKjT4_.num_vgpr, 20
	.set _Z19sort_keys_segmentedILj64ELj16ELj1ELb0EfN10test_utils4lessEEvPT3_PKjT4_.num_agpr, 0
	.set _Z19sort_keys_segmentedILj64ELj16ELj1ELb0EfN10test_utils4lessEEvPT3_PKjT4_.numbered_sgpr, 7
	.set _Z19sort_keys_segmentedILj64ELj16ELj1ELb0EfN10test_utils4lessEEvPT3_PKjT4_.num_named_barrier, 0
	.set _Z19sort_keys_segmentedILj64ELj16ELj1ELb0EfN10test_utils4lessEEvPT3_PKjT4_.private_seg_size, 0
	.set _Z19sort_keys_segmentedILj64ELj16ELj1ELb0EfN10test_utils4lessEEvPT3_PKjT4_.uses_vcc, 1
	.set _Z19sort_keys_segmentedILj64ELj16ELj1ELb0EfN10test_utils4lessEEvPT3_PKjT4_.uses_flat_scratch, 0
	.set _Z19sort_keys_segmentedILj64ELj16ELj1ELb0EfN10test_utils4lessEEvPT3_PKjT4_.has_dyn_sized_stack, 0
	.set _Z19sort_keys_segmentedILj64ELj16ELj1ELb0EfN10test_utils4lessEEvPT3_PKjT4_.has_recursion, 0
	.set _Z19sort_keys_segmentedILj64ELj16ELj1ELb0EfN10test_utils4lessEEvPT3_PKjT4_.has_indirect_call, 0
	.section	.AMDGPU.csdata,"",@progbits
; Kernel info:
; codeLenInByte = 1452
; TotalNumSgprs: 11
; NumVgprs: 20
; ScratchSize: 0
; MemoryBound: 0
; FloatMode: 240
; IeeeMode: 1
; LDSByteSize: 272 bytes/workgroup (compile time only)
; SGPRBlocks: 1
; VGPRBlocks: 4
; NumSGPRsForWavesPerEU: 11
; NumVGPRsForWavesPerEU: 20
; Occupancy: 10
; WaveLimiterHint : 0
; COMPUTE_PGM_RSRC2:SCRATCH_EN: 0
; COMPUTE_PGM_RSRC2:USER_SGPR: 6
; COMPUTE_PGM_RSRC2:TRAP_HANDLER: 0
; COMPUTE_PGM_RSRC2:TGID_X_EN: 1
; COMPUTE_PGM_RSRC2:TGID_Y_EN: 0
; COMPUTE_PGM_RSRC2:TGID_Z_EN: 0
; COMPUTE_PGM_RSRC2:TIDIG_COMP_CNT: 0
	.section	.text._Z19sort_keys_segmentedILj256ELj2ELj1ELb0EjN10test_utils4lessEEvPT3_PKjT4_,"axG",@progbits,_Z19sort_keys_segmentedILj256ELj2ELj1ELb0EjN10test_utils4lessEEvPT3_PKjT4_,comdat
	.protected	_Z19sort_keys_segmentedILj256ELj2ELj1ELb0EjN10test_utils4lessEEvPT3_PKjT4_ ; -- Begin function _Z19sort_keys_segmentedILj256ELj2ELj1ELb0EjN10test_utils4lessEEvPT3_PKjT4_
	.globl	_Z19sort_keys_segmentedILj256ELj2ELj1ELb0EjN10test_utils4lessEEvPT3_PKjT4_
	.p2align	8
	.type	_Z19sort_keys_segmentedILj256ELj2ELj1ELb0EjN10test_utils4lessEEvPT3_PKjT4_,@function
_Z19sort_keys_segmentedILj256ELj2ELj1ELb0EjN10test_utils4lessEEvPT3_PKjT4_: ; @_Z19sort_keys_segmentedILj256ELj2ELj1ELb0EjN10test_utils4lessEEvPT3_PKjT4_
; %bb.0:
	s_load_dwordx4 s[0:3], s[4:5], 0x0
	v_lshrrev_b32_e32 v7, 1, v0
	v_lshl_or_b32 v0, s6, 7, v7
	v_mov_b32_e32 v1, 0
	v_lshlrev_b64 v[2:3], 2, v[0:1]
	s_waitcnt lgkmcnt(0)
	v_mov_b32_e32 v4, s3
	v_add_co_u32_e32 v2, vcc, s2, v2
	v_addc_co_u32_e32 v3, vcc, v4, v3, vcc
	global_load_dword v6, v[2:3], off
	v_lshlrev_b32_e32 v0, 1, v0
	v_mbcnt_lo_u32_b32 v2, -1, 0
	v_lshlrev_b64 v[0:1], 2, v[0:1]
	v_mbcnt_hi_u32_b32 v2, -1, v2
	v_and_b32_e32 v4, 1, v2
	v_mov_b32_e32 v2, s1
	v_add_co_u32_e32 v0, vcc, s0, v0
	v_addc_co_u32_e32 v1, vcc, v2, v1, vcc
	v_lshlrev_b32_e32 v2, 2, v4
                                        ; implicit-def: $vgpr5
	s_waitcnt vmcnt(0)
	v_cmp_lt_u32_e32 vcc, v4, v6
	s_and_saveexec_b64 s[2:3], vcc
	s_cbranch_execz .LBB10_2
; %bb.1:
	v_add_co_u32_e64 v8, s[0:1], v0, v2
	v_addc_co_u32_e64 v9, s[0:1], 0, v1, s[0:1]
	global_load_dword v5, v[8:9], off
.LBB10_2:
	s_or_b64 exec, exec, s[2:3]
	v_mad_u32_u24 v8, v7, 12, v2
	; wave barrier
	s_waitcnt vmcnt(0)
	ds_write_b32 v8, v5
	v_min_i32_e32 v8, v6, v4
	v_min_i32_e32 v4, 0, v6
	v_add_u32_e32 v5, 1, v4
	v_min_i32_e32 v5, v6, v5
	v_add_u32_e32 v9, 1, v5
	v_min_i32_e32 v6, v6, v9
	v_sub_u32_e32 v11, v6, v5
	v_lshlrev_b32_e32 v9, 2, v4
	v_mul_u32_u24_e32 v3, 12, v7
	v_sub_u32_e32 v10, v5, v4
	v_mad_u32_u24 v9, v7, 12, v9
	v_sub_u32_e32 v7, v8, v11
	v_cmp_ge_i32_e64 s[0:1], v8, v11
	v_cndmask_b32_e64 v7, 0, v7, s[0:1]
	v_min_i32_e32 v10, v8, v10
	v_cmp_lt_i32_e64 s[0:1], v7, v10
	; wave barrier
	s_and_saveexec_b64 s[2:3], s[0:1]
	s_cbranch_execnz .LBB10_5
; %bb.3:
	s_or_b64 exec, exec, s[2:3]
	s_and_saveexec_b64 s[0:1], vcc
	s_cbranch_execnz .LBB10_8
.LBB10_4:
	s_endpgm
.LBB10_5:
	v_lshlrev_b32_e32 v11, 2, v5
	v_lshlrev_b32_e32 v12, 2, v8
	v_add3_u32 v11, v3, v11, v12
	s_mov_b64 s[4:5], 0
.LBB10_6:                               ; =>This Inner Loop Header: Depth=1
	v_sub_u32_e32 v12, v10, v7
	v_lshrrev_b32_e32 v12, 1, v12
	v_add_u32_e32 v12, v12, v7
	v_not_b32_e32 v14, v12
	v_lshl_add_u32 v13, v12, 2, v9
	v_lshl_add_u32 v14, v14, 2, v11
	ds_read_b32 v13, v13
	ds_read_b32 v14, v14
	v_add_u32_e32 v15, 1, v12
	s_waitcnt lgkmcnt(0)
	v_cmp_lt_u32_e64 s[0:1], v14, v13
	v_cndmask_b32_e64 v10, v10, v12, s[0:1]
	v_cndmask_b32_e64 v7, v15, v7, s[0:1]
	v_cmp_ge_i32_e64 s[0:1], v7, v10
	s_or_b64 s[4:5], s[0:1], s[4:5]
	s_andn2_b64 exec, exec, s[4:5]
	s_cbranch_execnz .LBB10_6
; %bb.7:
	s_or_b64 exec, exec, s[4:5]
	s_or_b64 exec, exec, s[2:3]
	s_and_saveexec_b64 s[0:1], vcc
	s_cbranch_execz .LBB10_4
.LBB10_8:
	v_add_u32_e32 v8, v5, v8
	v_sub_u32_e32 v8, v8, v7
	v_lshl_add_u32 v3, v8, 2, v3
	v_lshl_add_u32 v9, v7, 2, v9
	ds_read_b32 v3, v3
	ds_read_b32 v9, v9
	v_add_co_u32_e32 v0, vcc, v0, v2
	v_add_u32_e32 v2, v7, v4
	v_addc_co_u32_e32 v1, vcc, 0, v1, vcc
	v_cmp_le_i32_e64 s[0:1], v5, v2
	s_waitcnt lgkmcnt(0)
	v_cmp_lt_u32_e64 s[2:3], v3, v9
	v_cmp_gt_i32_e32 vcc, v6, v8
	s_or_b64 s[0:1], s[0:1], s[2:3]
	s_and_b64 vcc, vcc, s[0:1]
	v_cndmask_b32_e32 v2, v9, v3, vcc
	global_store_dword v[0:1], v2, off
	s_endpgm
	.section	.rodata,"a",@progbits
	.p2align	6, 0x0
	.amdhsa_kernel _Z19sort_keys_segmentedILj256ELj2ELj1ELb0EjN10test_utils4lessEEvPT3_PKjT4_
		.amdhsa_group_segment_fixed_size 1536
		.amdhsa_private_segment_fixed_size 0
		.amdhsa_kernarg_size 20
		.amdhsa_user_sgpr_count 6
		.amdhsa_user_sgpr_private_segment_buffer 1
		.amdhsa_user_sgpr_dispatch_ptr 0
		.amdhsa_user_sgpr_queue_ptr 0
		.amdhsa_user_sgpr_kernarg_segment_ptr 1
		.amdhsa_user_sgpr_dispatch_id 0
		.amdhsa_user_sgpr_flat_scratch_init 0
		.amdhsa_user_sgpr_private_segment_size 0
		.amdhsa_uses_dynamic_stack 0
		.amdhsa_system_sgpr_private_segment_wavefront_offset 0
		.amdhsa_system_sgpr_workgroup_id_x 1
		.amdhsa_system_sgpr_workgroup_id_y 0
		.amdhsa_system_sgpr_workgroup_id_z 0
		.amdhsa_system_sgpr_workgroup_info 0
		.amdhsa_system_vgpr_workitem_id 0
		.amdhsa_next_free_vgpr 16
		.amdhsa_next_free_sgpr 7
		.amdhsa_reserve_vcc 1
		.amdhsa_reserve_flat_scratch 0
		.amdhsa_float_round_mode_32 0
		.amdhsa_float_round_mode_16_64 0
		.amdhsa_float_denorm_mode_32 3
		.amdhsa_float_denorm_mode_16_64 3
		.amdhsa_dx10_clamp 1
		.amdhsa_ieee_mode 1
		.amdhsa_fp16_overflow 0
		.amdhsa_exception_fp_ieee_invalid_op 0
		.amdhsa_exception_fp_denorm_src 0
		.amdhsa_exception_fp_ieee_div_zero 0
		.amdhsa_exception_fp_ieee_overflow 0
		.amdhsa_exception_fp_ieee_underflow 0
		.amdhsa_exception_fp_ieee_inexact 0
		.amdhsa_exception_int_div_zero 0
	.end_amdhsa_kernel
	.section	.text._Z19sort_keys_segmentedILj256ELj2ELj1ELb0EjN10test_utils4lessEEvPT3_PKjT4_,"axG",@progbits,_Z19sort_keys_segmentedILj256ELj2ELj1ELb0EjN10test_utils4lessEEvPT3_PKjT4_,comdat
.Lfunc_end10:
	.size	_Z19sort_keys_segmentedILj256ELj2ELj1ELb0EjN10test_utils4lessEEvPT3_PKjT4_, .Lfunc_end10-_Z19sort_keys_segmentedILj256ELj2ELj1ELb0EjN10test_utils4lessEEvPT3_PKjT4_
                                        ; -- End function
	.set _Z19sort_keys_segmentedILj256ELj2ELj1ELb0EjN10test_utils4lessEEvPT3_PKjT4_.num_vgpr, 16
	.set _Z19sort_keys_segmentedILj256ELj2ELj1ELb0EjN10test_utils4lessEEvPT3_PKjT4_.num_agpr, 0
	.set _Z19sort_keys_segmentedILj256ELj2ELj1ELb0EjN10test_utils4lessEEvPT3_PKjT4_.numbered_sgpr, 7
	.set _Z19sort_keys_segmentedILj256ELj2ELj1ELb0EjN10test_utils4lessEEvPT3_PKjT4_.num_named_barrier, 0
	.set _Z19sort_keys_segmentedILj256ELj2ELj1ELb0EjN10test_utils4lessEEvPT3_PKjT4_.private_seg_size, 0
	.set _Z19sort_keys_segmentedILj256ELj2ELj1ELb0EjN10test_utils4lessEEvPT3_PKjT4_.uses_vcc, 1
	.set _Z19sort_keys_segmentedILj256ELj2ELj1ELb0EjN10test_utils4lessEEvPT3_PKjT4_.uses_flat_scratch, 0
	.set _Z19sort_keys_segmentedILj256ELj2ELj1ELb0EjN10test_utils4lessEEvPT3_PKjT4_.has_dyn_sized_stack, 0
	.set _Z19sort_keys_segmentedILj256ELj2ELj1ELb0EjN10test_utils4lessEEvPT3_PKjT4_.has_recursion, 0
	.set _Z19sort_keys_segmentedILj256ELj2ELj1ELb0EjN10test_utils4lessEEvPT3_PKjT4_.has_indirect_call, 0
	.section	.AMDGPU.csdata,"",@progbits
; Kernel info:
; codeLenInByte = 508
; TotalNumSgprs: 11
; NumVgprs: 16
; ScratchSize: 0
; MemoryBound: 0
; FloatMode: 240
; IeeeMode: 1
; LDSByteSize: 1536 bytes/workgroup (compile time only)
; SGPRBlocks: 1
; VGPRBlocks: 3
; NumSGPRsForWavesPerEU: 11
; NumVGPRsForWavesPerEU: 16
; Occupancy: 10
; WaveLimiterHint : 0
; COMPUTE_PGM_RSRC2:SCRATCH_EN: 0
; COMPUTE_PGM_RSRC2:USER_SGPR: 6
; COMPUTE_PGM_RSRC2:TRAP_HANDLER: 0
; COMPUTE_PGM_RSRC2:TGID_X_EN: 1
; COMPUTE_PGM_RSRC2:TGID_Y_EN: 0
; COMPUTE_PGM_RSRC2:TGID_Z_EN: 0
; COMPUTE_PGM_RSRC2:TIDIG_COMP_CNT: 0
	.section	.text._Z26sort_keys_values_segmentedILj256ELj32ELj7ELb0EiN10test_utils16custom_test_typeIsEENS0_7greaterEEvPT3_PT4_PKjT5_,"axG",@progbits,_Z26sort_keys_values_segmentedILj256ELj32ELj7ELb0EiN10test_utils16custom_test_typeIsEENS0_7greaterEEvPT3_PT4_PKjT5_,comdat
	.protected	_Z26sort_keys_values_segmentedILj256ELj32ELj7ELb0EiN10test_utils16custom_test_typeIsEENS0_7greaterEEvPT3_PT4_PKjT5_ ; -- Begin function _Z26sort_keys_values_segmentedILj256ELj32ELj7ELb0EiN10test_utils16custom_test_typeIsEENS0_7greaterEEvPT3_PT4_PKjT5_
	.globl	_Z26sort_keys_values_segmentedILj256ELj32ELj7ELb0EiN10test_utils16custom_test_typeIsEENS0_7greaterEEvPT3_PT4_PKjT5_
	.p2align	8
	.type	_Z26sort_keys_values_segmentedILj256ELj32ELj7ELb0EiN10test_utils16custom_test_typeIsEENS0_7greaterEEvPT3_PT4_PKjT5_,@function
_Z26sort_keys_values_segmentedILj256ELj32ELj7ELb0EiN10test_utils16custom_test_typeIsEENS0_7greaterEEvPT3_PT4_PKjT5_: ; @_Z26sort_keys_values_segmentedILj256ELj32ELj7ELb0EiN10test_utils16custom_test_typeIsEENS0_7greaterEEvPT3_PT4_PKjT5_
; %bb.0:
	s_load_dwordx2 s[0:1], s[4:5], 0x10
	s_load_dwordx4 s[12:15], s[4:5], 0x0
	v_lshrrev_b32_e32 v13, 5, v0
	v_lshl_or_b32 v3, s6, 3, v13
	v_mov_b32_e32 v4, 0
	v_lshlrev_b64 v[0:1], 2, v[3:4]
	s_waitcnt lgkmcnt(0)
	v_mov_b32_e32 v2, s1
	v_add_co_u32_e32 v0, vcc, s0, v0
	v_addc_co_u32_e32 v1, vcc, v2, v1, vcc
	global_load_dword v5, v[0:1], off
	s_movk_i32 s0, 0xe0
	v_mul_lo_u32 v3, v3, s0
	v_mbcnt_lo_u32_b32 v0, -1, 0
	v_mbcnt_hi_u32_b32 v9, -1, v0
	v_and_b32_e32 v0, 31, v9
	v_lshlrev_b64 v[2:3], 2, v[3:4]
	v_mul_u32_u24_e32 v6, 7, v0
	v_mov_b32_e32 v0, s13
	v_add_co_u32_e32 v1, vcc, s12, v2
	v_lshlrev_b32_e32 v8, 2, v6
	v_addc_co_u32_e32 v7, vcc, v0, v3, vcc
	v_add_co_u32_e32 v0, vcc, v1, v8
	v_addc_co_u32_e32 v1, vcc, 0, v7, vcc
	v_mov_b32_e32 v19, v4
	v_mov_b32_e32 v21, v4
	;; [unrolled: 1-line block ×6, first 2 shown]
	s_waitcnt vmcnt(0)
	v_cmp_lt_u32_e32 vcc, v6, v5
	s_and_saveexec_b64 s[0:1], vcc
	s_cbranch_execz .LBB11_2
; %bb.1:
	global_load_dword v19, v[0:1], off
	v_mov_b32_e32 v21, v4
	v_mov_b32_e32 v22, v4
	;; [unrolled: 1-line block ×5, first 2 shown]
.LBB11_2:
	s_or_b64 exec, exec, s[0:1]
	v_add_u32_e32 v23, 1, v6
	v_cmp_lt_u32_e64 s[0:1], v23, v5
	s_and_saveexec_b64 s[2:3], s[0:1]
	s_cbranch_execz .LBB11_4
; %bb.3:
	global_load_dword v4, v[0:1], off offset:4
.LBB11_4:
	s_or_b64 exec, exec, s[2:3]
	v_add_u32_e32 v24, 2, v6
	v_cmp_lt_u32_e64 s[2:3], v24, v5
	s_and_saveexec_b64 s[4:5], s[2:3]
	s_cbranch_execz .LBB11_6
; %bb.5:
	global_load_dword v21, v[0:1], off offset:8
.LBB11_6:
	s_or_b64 exec, exec, s[4:5]
	v_add_u32_e32 v25, 3, v6
	v_cmp_lt_u32_e64 s[4:5], v25, v5
	s_and_saveexec_b64 s[6:7], s[4:5]
	s_cbranch_execz .LBB11_8
; %bb.7:
	global_load_dword v22, v[0:1], off offset:12
.LBB11_8:
	s_or_b64 exec, exec, s[6:7]
	v_add_u32_e32 v26, 4, v6
	v_cmp_lt_u32_e64 s[6:7], v26, v5
	s_and_saveexec_b64 s[8:9], s[6:7]
	s_cbranch_execz .LBB11_10
; %bb.9:
	global_load_dword v18, v[0:1], off offset:16
.LBB11_10:
	s_or_b64 exec, exec, s[8:9]
	v_add_u32_e32 v28, 5, v6
	v_cmp_lt_u32_e64 s[8:9], v28, v5
	s_and_saveexec_b64 s[10:11], s[8:9]
	s_cbranch_execz .LBB11_12
; %bb.11:
	global_load_dword v20, v[0:1], off offset:20
.LBB11_12:
	s_or_b64 exec, exec, s[10:11]
	v_add_u32_e32 v27, 6, v6
	v_cmp_lt_u32_e64 s[10:11], v27, v5
	s_and_saveexec_b64 s[12:13], s[10:11]
	s_cbranch_execz .LBB11_14
; %bb.13:
	global_load_dword v7, v[0:1], off offset:24
.LBB11_14:
	s_or_b64 exec, exec, s[12:13]
	v_mov_b32_e32 v10, s15
	v_add_co_u32_e64 v2, s[12:13], s14, v2
	v_addc_co_u32_e64 v3, s[12:13], v10, v3, s[12:13]
	v_add_co_u32_e64 v2, s[12:13], v2, v8
	v_mov_b32_e32 v11, 0
	v_addc_co_u32_e64 v3, s[12:13], 0, v3, s[12:13]
	v_mov_b32_e32 v12, 0
	s_and_saveexec_b64 s[12:13], vcc
	s_cbranch_execz .LBB11_16
; %bb.15:
	global_load_dword v12, v[2:3], off
.LBB11_16:
	s_or_b64 exec, exec, s[12:13]
	s_and_saveexec_b64 s[12:13], s[0:1]
	s_cbranch_execz .LBB11_18
; %bb.17:
	global_load_dword v11, v[2:3], off offset:4
.LBB11_18:
	s_or_b64 exec, exec, s[12:13]
	v_mov_b32_e32 v15, 0
	v_mov_b32_e32 v16, 0
	s_and_saveexec_b64 s[12:13], s[2:3]
	s_cbranch_execz .LBB11_20
; %bb.19:
	global_load_dword v16, v[2:3], off offset:8
.LBB11_20:
	s_or_b64 exec, exec, s[12:13]
	s_and_saveexec_b64 s[12:13], s[4:5]
	s_cbranch_execz .LBB11_22
; %bb.21:
	global_load_dword v15, v[2:3], off offset:12
.LBB11_22:
	s_or_b64 exec, exec, s[12:13]
	v_mov_b32_e32 v10, 0
	v_mov_b32_e32 v14, 0
	s_and_saveexec_b64 s[12:13], s[6:7]
	s_cbranch_execnz .LBB11_29
; %bb.23:
	s_or_b64 exec, exec, s[12:13]
	s_and_saveexec_b64 s[12:13], s[8:9]
	s_cbranch_execnz .LBB11_30
.LBB11_24:
	s_or_b64 exec, exec, s[12:13]
	v_mov_b32_e32 v17, 0
	s_and_saveexec_b64 s[12:13], s[10:11]
	s_cbranch_execz .LBB11_26
.LBB11_25:
	global_load_dword v17, v[2:3], off offset:24
.LBB11_26:
	s_or_b64 exec, exec, s[12:13]
	v_cmp_lt_i32_e64 s[18:19], v26, v5
	v_cmp_lt_i32_e64 s[20:21], v28, v5
	v_cmp_lt_i32_e64 s[16:17], v25, v5
	s_or_b64 s[18:19], s[20:21], s[18:19]
	v_cmp_lt_i32_e64 s[14:15], v24, v5
	s_or_b64 s[16:17], s[18:19], s[16:17]
	v_cmp_lt_i32_e64 s[12:13], v23, v5
	s_or_b64 s[14:15], s[16:17], s[14:15]
	v_bfrev_b32_e32 v23, 1
	s_or_b64 s[12:13], s[14:15], s[12:13]
	s_brev_b32 s22, 1
	s_waitcnt vmcnt(0)
	v_cndmask_b32_e64 v20, v23, v20, s[20:21]
	v_cndmask_b32_e64 v18, v23, v18, s[18:19]
	;; [unrolled: 1-line block ×5, first 2 shown]
	v_cmp_ge_i32_e64 s[12:13], v27, v5
	s_mov_b64 s[14:15], 0
	s_and_saveexec_b64 s[16:17], s[12:13]
	s_xor_b64 s[16:17], exec, s[16:17]
	s_cbranch_execnz .LBB11_31
; %bb.27:
	s_andn2_saveexec_b64 s[12:13], s[16:17]
	s_cbranch_execnz .LBB11_32
.LBB11_28:
	s_or_b64 exec, exec, s[12:13]
	v_bfrev_b32_e32 v23, 1
	s_and_saveexec_b64 s[20:21], s[14:15]
	s_cbranch_execnz .LBB11_33
	s_branch .LBB11_36
.LBB11_29:
	global_load_dword v14, v[2:3], off offset:16
	s_or_b64 exec, exec, s[12:13]
	s_and_saveexec_b64 s[12:13], s[8:9]
	s_cbranch_execz .LBB11_24
.LBB11_30:
	global_load_dword v10, v[2:3], off offset:20
	s_or_b64 exec, exec, s[12:13]
	v_mov_b32_e32 v17, 0
	s_and_saveexec_b64 s[12:13], s[10:11]
	s_cbranch_execnz .LBB11_25
	s_branch .LBB11_26
.LBB11_31:
	v_cmp_lt_i32_e64 s[12:13], v6, v5
	v_mov_b32_e32 v7, s22
	s_and_b64 s[14:15], s[12:13], exec
	s_andn2_saveexec_b64 s[12:13], s[16:17]
	s_cbranch_execz .LBB11_28
.LBB11_32:
	s_or_b64 s[14:15], s[14:15], exec
	s_or_b64 exec, exec, s[12:13]
	v_bfrev_b32_e32 v23, 1
	s_and_saveexec_b64 s[20:21], s[14:15]
	s_cbranch_execz .LBB11_36
.LBB11_33:
	v_cmp_gt_i32_e64 s[12:13], v4, v19
	v_cndmask_b32_e64 v23, v11, v12, s[12:13]
	v_cndmask_b32_e64 v11, v12, v11, s[12:13]
	v_cndmask_b32_e64 v12, v19, v4, s[12:13]
	v_cndmask_b32_e64 v4, v4, v19, s[12:13]
	v_cmp_gt_i32_e64 s[12:13], v22, v21
	v_cndmask_b32_e64 v19, v15, v16, s[12:13]
	v_cndmask_b32_e64 v15, v16, v15, s[12:13]
	v_cndmask_b32_e64 v16, v22, v21, s[12:13]
	v_cndmask_b32_e64 v21, v21, v22, s[12:13]
	v_cmp_gt_i32_e64 s[12:13], v20, v18
	v_cndmask_b32_e64 v22, v10, v14, s[12:13]
	v_cndmask_b32_e64 v10, v14, v10, s[12:13]
	v_cndmask_b32_e64 v14, v20, v18, s[12:13]
	v_cndmask_b32_e64 v18, v18, v20, s[12:13]
	v_cmp_gt_i32_e64 s[12:13], v21, v4
	v_cndmask_b32_e64 v20, v15, v23, s[12:13]
	v_cndmask_b32_e64 v15, v23, v15, s[12:13]
	v_cndmask_b32_e64 v23, v21, v4, s[12:13]
	v_cndmask_b32_e64 v4, v4, v21, s[12:13]
	v_cmp_gt_i32_e64 s[12:13], v18, v16
	v_cndmask_b32_e64 v21, v10, v19, s[12:13]
	v_cndmask_b32_e64 v10, v19, v10, s[12:13]
	v_cndmask_b32_e64 v19, v18, v16, s[12:13]
	v_cndmask_b32_e64 v16, v16, v18, s[12:13]
	v_cmp_gt_i32_e64 s[12:13], v7, v14
	v_cndmask_b32_e64 v18, v17, v22, s[12:13]
	v_cndmask_b32_e64 v17, v22, v17, s[12:13]
	v_cndmask_b32_e64 v22, v7, v14, s[12:13]
	v_cndmask_b32_e64 v7, v14, v7, s[12:13]
	v_cmp_gt_i32_e64 s[12:13], v4, v12
	v_cndmask_b32_e64 v14, v15, v11, s[12:13]
	v_cndmask_b32_e64 v11, v11, v15, s[12:13]
	v_cndmask_b32_e64 v15, v12, v4, s[12:13]
	v_cndmask_b32_e64 v4, v4, v12, s[12:13]
	v_cmp_gt_i32_e64 s[12:13], v16, v23
	v_cndmask_b32_e64 v12, v10, v20, s[12:13]
	v_cndmask_b32_e64 v10, v20, v10, s[12:13]
	v_cndmask_b32_e64 v20, v16, v23, s[12:13]
	v_cndmask_b32_e64 v16, v23, v16, s[12:13]
	v_cmp_gt_i32_e64 s[12:13], v7, v19
	v_cndmask_b32_e64 v23, v17, v21, s[12:13]
	v_cndmask_b32_e64 v17, v21, v17, s[12:13]
	v_cndmask_b32_e64 v21, v7, v19, s[12:13]
	v_cndmask_b32_e64 v7, v19, v7, s[12:13]
	v_cmp_gt_i32_e64 s[12:13], v16, v4
	v_cndmask_b32_e64 v19, v10, v14, s[12:13]
	v_cndmask_b32_e64 v10, v14, v10, s[12:13]
	v_cndmask_b32_e64 v14, v16, v4, s[12:13]
	v_cndmask_b32_e64 v4, v4, v16, s[12:13]
	v_cmp_gt_i32_e64 s[12:13], v7, v20
	v_cndmask_b32_e64 v16, v17, v12, s[12:13]
	v_cndmask_b32_e64 v17, v12, v17, s[12:13]
	v_cndmask_b32_e64 v24, v7, v20, s[12:13]
	v_cndmask_b32_e64 v20, v20, v7, s[12:13]
	v_cmp_gt_i32_e64 s[12:13], v22, v21
	v_cndmask_b32_e64 v7, v18, v23, s[12:13]
	v_cndmask_b32_e64 v18, v23, v18, s[12:13]
	v_cndmask_b32_e64 v25, v22, v21, s[12:13]
	v_cndmask_b32_e64 v21, v21, v22, s[12:13]
	v_cmp_gt_i32_e64 s[12:13], v4, v15
	v_cndmask_b32_e64 v22, v10, v11, s[12:13]
	v_cndmask_b32_e64 v12, v11, v10, s[12:13]
	v_cndmask_b32_e64 v26, v15, v4, s[12:13]
	v_cndmask_b32_e64 v4, v4, v15, s[12:13]
	v_cmp_gt_i32_e64 s[12:13], v20, v14
	v_cndmask_b32_e64 v10, v17, v19, s[12:13]
	v_cndmask_b32_e64 v15, v19, v17, s[12:13]
	v_cndmask_b32_e64 v19, v20, v14, s[12:13]
	v_cndmask_b32_e64 v14, v14, v20, s[12:13]
	v_cmp_gt_i32_e64 s[12:13], v21, v24
	v_cndmask_b32_e64 v11, v18, v16, s[12:13]
	v_cndmask_b32_e64 v18, v16, v18, s[12:13]
	v_cndmask_b32_e64 v20, v21, v24, s[12:13]
	v_cndmask_b32_e64 v21, v24, v21, s[12:13]
	v_cmp_gt_i32_e64 s[12:13], v14, v4
	v_cndmask_b32_e64 v16, v15, v22, s[12:13]
	v_cndmask_b32_e64 v15, v22, v15, s[12:13]
	v_cndmask_b32_e64 v27, v14, v4, s[12:13]
	v_cndmask_b32_e64 v14, v4, v14, s[12:13]
	v_cmp_gt_i32_e64 s[12:13], v21, v19
	v_cndmask_b32_e64 v17, v18, v10, s[12:13]
	v_cndmask_b32_e64 v24, v10, v18, s[12:13]
	v_cndmask_b32_e64 v18, v21, v19, s[12:13]
	v_cndmask_b32_e64 v21, v19, v21, s[12:13]
	v_cmp_gt_i32_e64 s[12:13], v25, v20
	v_cndmask_b32_e64 v23, v25, v20, s[12:13]
	v_cndmask_b32_e64 v20, v20, v25, s[12:13]
	v_cmp_gt_i32_e64 s[14:15], v14, v26
	v_cmp_gt_i32_e64 s[16:17], v21, v27
	v_cndmask_b32_e64 v10, v11, v7, s[12:13]
	v_cndmask_b32_e64 v4, v14, v26, s[14:15]
	;; [unrolled: 1-line block ×5, first 2 shown]
	v_cmp_gt_i32_e64 s[18:19], v20, v18
	v_mov_b32_e32 v14, v17
	s_and_saveexec_b64 s[22:23], s[18:19]
; %bb.34:
	v_mov_b32_e32 v14, v20
	v_swap_b32 v20, v18
	v_mov_b32_e32 v14, v10
	v_mov_b32_e32 v10, v17
; %bb.35:
	s_or_b64 exec, exec, s[22:23]
	v_cndmask_b32_e64 v17, v7, v11, s[12:13]
	v_cndmask_b32_e64 v11, v15, v12, s[14:15]
	;; [unrolled: 1-line block ×5, first 2 shown]
.LBB11_36:
	s_or_b64 exec, exec, s[20:21]
	s_movk_i32 s14, 0x384
	v_mad_u32_u24 v8, v13, s14, v8
	; wave barrier
	ds_write2_b32 v8, v19, v4 offset1:1
	ds_write2_b32 v8, v21, v22 offset0:2 offset1:3
	ds_write2_b32 v8, v18, v20 offset0:4 offset1:5
	ds_write_b32 v8, v23 offset:24
	v_and_b32_e32 v4, 30, v9
	v_mul_u32_u24_e32 v4, 7, v4
	v_and_b32_e32 v18, 1, v9
	v_min_i32_e32 v20, v5, v4
	v_cmp_eq_u32_e64 s[12:13], 1, v18
	v_add_u32_e32 v4, 7, v20
	v_cndmask_b32_e64 v18, 0, 7, s[12:13]
	v_min_i32_e32 v4, v5, v4
	v_min_i32_e32 v19, v5, v18
	v_add_u32_e32 v18, 7, v4
	v_min_i32_e32 v18, v5, v18
	v_sub_u32_e32 v22, v18, v4
	v_lshlrev_b32_e32 v21, 2, v20
	v_mul_u32_u24_e32 v7, 0x384, v13
	v_sub_u32_e32 v23, v4, v20
	v_mad_u32_u24 v21, v13, s14, v21
	v_sub_u32_e32 v13, v19, v22
	v_cmp_ge_i32_e64 s[12:13], v19, v22
	v_cndmask_b32_e64 v22, 0, v13, s[12:13]
	v_min_i32_e32 v13, v19, v23
	v_cmp_lt_i32_e64 s[12:13], v22, v13
	; wave barrier
	s_and_saveexec_b64 s[14:15], s[12:13]
	s_cbranch_execz .LBB11_40
; %bb.37:
	v_lshlrev_b32_e32 v23, 2, v4
	v_lshlrev_b32_e32 v24, 2, v19
	v_add3_u32 v23, v7, v23, v24
	s_mov_b64 s[16:17], 0
.LBB11_38:                              ; =>This Inner Loop Header: Depth=1
	v_sub_u32_e32 v24, v13, v22
	v_lshrrev_b32_e32 v24, 1, v24
	v_add_u32_e32 v24, v24, v22
	v_not_b32_e32 v26, v24
	v_lshl_add_u32 v25, v24, 2, v21
	v_lshl_add_u32 v26, v26, 2, v23
	ds_read_b32 v25, v25
	ds_read_b32 v26, v26
	v_add_u32_e32 v27, 1, v24
	s_waitcnt lgkmcnt(0)
	v_cmp_gt_i32_e64 s[12:13], v26, v25
	v_cndmask_b32_e64 v13, v13, v24, s[12:13]
	v_cndmask_b32_e64 v22, v27, v22, s[12:13]
	v_cmp_ge_i32_e64 s[12:13], v22, v13
	s_or_b64 s[16:17], s[12:13], s[16:17]
	s_andn2_b64 exec, exec, s[16:17]
	s_cbranch_execnz .LBB11_38
; %bb.39:
	s_or_b64 exec, exec, s[16:17]
.LBB11_40:
	s_or_b64 exec, exec, s[14:15]
	v_add_u32_e32 v13, v4, v19
	v_sub_u32_e32 v13, v13, v22
	v_lshl_add_u32 v23, v22, 2, v21
	v_lshl_add_u32 v24, v13, 2, v7
	ds_read_b32 v19, v23
	ds_read_b32 v21, v24
	v_add_u32_e32 v20, v22, v20
	v_cmp_le_i32_e64 s[14:15], v4, v20
	v_cmp_gt_i32_e64 s[12:13], v18, v13
                                        ; implicit-def: $vgpr22
	s_waitcnt lgkmcnt(0)
	v_cmp_gt_i32_e64 s[16:17], v21, v19
	s_or_b64 s[14:15], s[14:15], s[16:17]
	s_and_b64 s[12:13], s[12:13], s[14:15]
	s_xor_b64 s[14:15], s[12:13], -1
	s_and_saveexec_b64 s[16:17], s[14:15]
	s_xor_b64 s[14:15], exec, s[16:17]
; %bb.41:
	ds_read_b32 v22, v23 offset:4
                                        ; implicit-def: $vgpr24
; %bb.42:
	s_or_saveexec_b64 s[14:15], s[14:15]
	v_mov_b32_e32 v23, v21
	s_xor_b64 exec, exec, s[14:15]
	s_cbranch_execz .LBB11_44
; %bb.43:
	ds_read_b32 v23, v24 offset:4
	s_waitcnt lgkmcnt(1)
	v_mov_b32_e32 v22, v19
.LBB11_44:
	s_or_b64 exec, exec, s[14:15]
	v_add_u32_e32 v25, 1, v20
	v_add_u32_e32 v24, 1, v13
	v_cndmask_b32_e64 v25, v25, v20, s[12:13]
	v_cndmask_b32_e64 v24, v13, v24, s[12:13]
	v_cmp_ge_i32_e64 s[16:17], v25, v4
	s_waitcnt lgkmcnt(0)
	v_cmp_gt_i32_e64 s[18:19], v23, v22
	v_cmp_lt_i32_e64 s[14:15], v24, v18
	s_or_b64 s[16:17], s[16:17], s[18:19]
	s_and_b64 s[14:15], s[14:15], s[16:17]
	s_xor_b64 s[16:17], s[14:15], -1
                                        ; implicit-def: $vgpr26
	s_and_saveexec_b64 s[18:19], s[16:17]
	s_xor_b64 s[16:17], exec, s[18:19]
; %bb.45:
	v_lshl_add_u32 v26, v25, 2, v7
	ds_read_b32 v26, v26 offset:4
; %bb.46:
	s_or_saveexec_b64 s[16:17], s[16:17]
	v_mov_b32_e32 v27, v23
	s_xor_b64 exec, exec, s[16:17]
	s_cbranch_execz .LBB11_48
; %bb.47:
	s_waitcnt lgkmcnt(0)
	v_lshl_add_u32 v26, v24, 2, v7
	ds_read_b32 v27, v26 offset:4
	v_mov_b32_e32 v26, v22
.LBB11_48:
	s_or_b64 exec, exec, s[16:17]
	v_add_u32_e32 v29, 1, v25
	v_add_u32_e32 v28, 1, v24
	v_cndmask_b32_e64 v29, v29, v25, s[14:15]
	v_cndmask_b32_e64 v28, v24, v28, s[14:15]
	v_cmp_ge_i32_e64 s[18:19], v29, v4
	s_waitcnt lgkmcnt(0)
	v_cmp_gt_i32_e64 s[20:21], v27, v26
	v_cmp_lt_i32_e64 s[16:17], v28, v18
	s_or_b64 s[18:19], s[18:19], s[20:21]
	s_and_b64 s[16:17], s[16:17], s[18:19]
	s_xor_b64 s[18:19], s[16:17], -1
                                        ; implicit-def: $vgpr30
	s_and_saveexec_b64 s[20:21], s[18:19]
	s_xor_b64 s[18:19], exec, s[20:21]
; %bb.49:
	v_lshl_add_u32 v30, v29, 2, v7
	ds_read_b32 v30, v30 offset:4
; %bb.50:
	s_or_saveexec_b64 s[18:19], s[18:19]
	v_mov_b32_e32 v31, v27
	s_xor_b64 exec, exec, s[18:19]
	s_cbranch_execz .LBB11_52
; %bb.51:
	s_waitcnt lgkmcnt(0)
	v_lshl_add_u32 v30, v28, 2, v7
	ds_read_b32 v31, v30 offset:4
	v_mov_b32_e32 v30, v26
.LBB11_52:
	s_or_b64 exec, exec, s[18:19]
	v_add_u32_e32 v33, 1, v29
	v_add_u32_e32 v32, 1, v28
	v_cndmask_b32_e64 v33, v33, v29, s[16:17]
	v_cndmask_b32_e64 v32, v28, v32, s[16:17]
	v_cmp_ge_i32_e64 s[20:21], v33, v4
	s_waitcnt lgkmcnt(0)
	v_cmp_gt_i32_e64 s[22:23], v31, v30
	v_cmp_lt_i32_e64 s[18:19], v32, v18
	s_or_b64 s[20:21], s[20:21], s[22:23]
	s_and_b64 s[18:19], s[18:19], s[20:21]
	s_xor_b64 s[20:21], s[18:19], -1
                                        ; implicit-def: $vgpr34
	s_and_saveexec_b64 s[22:23], s[20:21]
	s_xor_b64 s[20:21], exec, s[22:23]
; %bb.53:
	v_lshl_add_u32 v34, v33, 2, v7
	ds_read_b32 v34, v34 offset:4
; %bb.54:
	s_or_saveexec_b64 s[20:21], s[20:21]
	v_mov_b32_e32 v35, v31
	s_xor_b64 exec, exec, s[20:21]
	s_cbranch_execz .LBB11_56
; %bb.55:
	s_waitcnt lgkmcnt(0)
	v_lshl_add_u32 v34, v32, 2, v7
	ds_read_b32 v35, v34 offset:4
	v_mov_b32_e32 v34, v30
.LBB11_56:
	s_or_b64 exec, exec, s[20:21]
	v_add_u32_e32 v37, 1, v33
	v_add_u32_e32 v36, 1, v32
	v_cndmask_b32_e64 v37, v37, v33, s[18:19]
	v_cndmask_b32_e64 v36, v32, v36, s[18:19]
	v_cmp_ge_i32_e64 s[22:23], v37, v4
	s_waitcnt lgkmcnt(0)
	v_cmp_gt_i32_e64 s[24:25], v35, v34
	v_cmp_lt_i32_e64 s[20:21], v36, v18
	s_or_b64 s[22:23], s[22:23], s[24:25]
	s_and_b64 s[20:21], s[20:21], s[22:23]
	s_xor_b64 s[22:23], s[20:21], -1
                                        ; implicit-def: $vgpr38
	s_and_saveexec_b64 s[24:25], s[22:23]
	s_xor_b64 s[22:23], exec, s[24:25]
; %bb.57:
	v_lshl_add_u32 v38, v37, 2, v7
	ds_read_b32 v38, v38 offset:4
; %bb.58:
	s_or_saveexec_b64 s[22:23], s[22:23]
	v_mov_b32_e32 v39, v35
	s_xor_b64 exec, exec, s[22:23]
	s_cbranch_execz .LBB11_60
; %bb.59:
	s_waitcnt lgkmcnt(0)
	v_lshl_add_u32 v38, v36, 2, v7
	ds_read_b32 v39, v38 offset:4
	v_mov_b32_e32 v38, v34
.LBB11_60:
	s_or_b64 exec, exec, s[22:23]
	v_add_u32_e32 v42, 1, v37
	v_add_u32_e32 v40, 1, v36
	v_cndmask_b32_e64 v42, v42, v37, s[20:21]
	v_cndmask_b32_e64 v41, v36, v40, s[20:21]
	v_cmp_ge_i32_e64 s[24:25], v42, v4
	s_waitcnt lgkmcnt(0)
	v_cmp_gt_i32_e64 s[26:27], v39, v38
	v_cmp_lt_i32_e64 s[22:23], v41, v18
	s_or_b64 s[24:25], s[24:25], s[26:27]
	s_and_b64 s[22:23], s[22:23], s[24:25]
	s_xor_b64 s[24:25], s[22:23], -1
                                        ; implicit-def: $vgpr40
	s_and_saveexec_b64 s[26:27], s[24:25]
	s_xor_b64 s[24:25], exec, s[26:27]
; %bb.61:
	v_lshl_add_u32 v40, v42, 2, v7
	ds_read_b32 v40, v40 offset:4
; %bb.62:
	s_or_saveexec_b64 s[24:25], s[24:25]
	v_mov_b32_e32 v43, v39
	s_xor_b64 exec, exec, s[24:25]
	s_cbranch_execz .LBB11_64
; %bb.63:
	s_waitcnt lgkmcnt(0)
	v_lshl_add_u32 v40, v41, 2, v7
	ds_read_b32 v43, v40 offset:4
	v_mov_b32_e32 v40, v38
.LBB11_64:
	s_or_b64 exec, exec, s[24:25]
	v_add_u32_e32 v44, 1, v42
	v_cndmask_b32_e64 v38, v38, v39, s[22:23]
	v_add_u32_e32 v39, 1, v41
	v_cndmask_b32_e64 v44, v44, v42, s[22:23]
	v_cndmask_b32_e64 v39, v41, v39, s[22:23]
	;; [unrolled: 1-line block ×6, first 2 shown]
	v_cmp_ge_i32_e64 s[14:15], v44, v4
	s_waitcnt lgkmcnt(0)
	v_cmp_gt_i32_e64 s[16:17], v43, v40
	v_cndmask_b32_e64 v19, v19, v21, s[12:13]
	v_cndmask_b32_e64 v13, v20, v13, s[12:13]
	v_cmp_lt_i32_e64 s[12:13], v39, v18
	s_or_b64 s[14:15], s[14:15], s[16:17]
	s_and_b64 s[12:13], s[12:13], s[14:15]
	v_cndmask_b32_e64 v41, v42, v41, s[22:23]
	v_cndmask_b32_e64 v34, v34, v35, s[20:21]
	;; [unrolled: 1-line block ×6, first 2 shown]
	; wave barrier
	ds_write2_b32 v8, v12, v11 offset1:1
	ds_write2_b32 v8, v16, v15 offset0:2 offset1:3
	ds_write2_b32 v8, v14, v10 offset0:4 offset1:5
	ds_write_b32 v8, v17 offset:24
	v_lshl_add_u32 v10, v13, 2, v7
	v_lshl_add_u32 v11, v23, 2, v7
	;; [unrolled: 1-line block ×7, first 2 shown]
	; wave barrier
	ds_read_b32 v4, v10
	ds_read_b32 v10, v11
	;; [unrolled: 1-line block ×7, first 2 shown]
	v_and_b32_e32 v16, 28, v9
	v_mul_u32_u24_e32 v16, 7, v16
	v_min_i32_e32 v20, v5, v16
	v_and_b32_e32 v17, 3, v9
	v_add_u32_e32 v16, 14, v20
	v_cndmask_b32_e64 v18, v40, v43, s[12:13]
	v_mul_u32_u24_e32 v17, 7, v17
	v_min_i32_e32 v16, v5, v16
	; wave barrier
	ds_write2_b32 v8, v19, v22 offset1:1
	ds_write2_b32 v8, v26, v30 offset0:2 offset1:3
	ds_write2_b32 v8, v34, v38 offset0:4 offset1:5
	ds_write_b32 v8, v18 offset:24
	v_min_i32_e32 v18, v5, v17
	v_add_u32_e32 v17, 14, v16
	v_min_i32_e32 v17, v5, v17
	v_sub_u32_e32 v22, v17, v16
	v_sub_u32_e32 v21, v16, v20
	;; [unrolled: 1-line block ×3, first 2 shown]
	v_cmp_ge_i32_e64 s[12:13], v18, v22
	v_cndmask_b32_e64 v22, 0, v23, s[12:13]
	v_min_i32_e32 v21, v18, v21
	v_lshl_add_u32 v19, v20, 2, v7
	v_cmp_lt_i32_e64 s[12:13], v22, v21
	; wave barrier
	s_and_saveexec_b64 s[14:15], s[12:13]
	s_cbranch_execz .LBB11_68
; %bb.65:
	v_lshlrev_b32_e32 v23, 2, v16
	v_lshlrev_b32_e32 v24, 2, v18
	v_add3_u32 v23, v7, v23, v24
	s_mov_b64 s[16:17], 0
.LBB11_66:                              ; =>This Inner Loop Header: Depth=1
	v_sub_u32_e32 v24, v21, v22
	v_lshrrev_b32_e32 v24, 1, v24
	v_add_u32_e32 v24, v24, v22
	v_not_b32_e32 v26, v24
	v_lshl_add_u32 v25, v24, 2, v19
	v_lshl_add_u32 v26, v26, 2, v23
	ds_read_b32 v25, v25
	ds_read_b32 v26, v26
	v_add_u32_e32 v27, 1, v24
	s_waitcnt lgkmcnt(0)
	v_cmp_gt_i32_e64 s[12:13], v26, v25
	v_cndmask_b32_e64 v21, v21, v24, s[12:13]
	v_cndmask_b32_e64 v22, v27, v22, s[12:13]
	v_cmp_ge_i32_e64 s[12:13], v22, v21
	s_or_b64 s[16:17], s[12:13], s[16:17]
	s_andn2_b64 exec, exec, s[16:17]
	s_cbranch_execnz .LBB11_66
; %bb.67:
	s_or_b64 exec, exec, s[16:17]
.LBB11_68:
	s_or_b64 exec, exec, s[14:15]
	v_add_u32_e32 v18, v16, v18
	v_sub_u32_e32 v18, v18, v22
	v_lshl_add_u32 v23, v22, 2, v19
	v_lshl_add_u32 v24, v18, 2, v7
	ds_read_b32 v19, v23
	ds_read_b32 v21, v24
	v_add_u32_e32 v20, v22, v20
	v_cmp_le_i32_e64 s[14:15], v16, v20
	v_cmp_gt_i32_e64 s[12:13], v17, v18
                                        ; implicit-def: $vgpr22
	s_waitcnt lgkmcnt(0)
	v_cmp_gt_i32_e64 s[16:17], v21, v19
	s_or_b64 s[14:15], s[14:15], s[16:17]
	s_and_b64 s[12:13], s[12:13], s[14:15]
	s_xor_b64 s[14:15], s[12:13], -1
	s_and_saveexec_b64 s[16:17], s[14:15]
	s_xor_b64 s[14:15], exec, s[16:17]
; %bb.69:
	ds_read_b32 v22, v23 offset:4
                                        ; implicit-def: $vgpr24
; %bb.70:
	s_or_saveexec_b64 s[14:15], s[14:15]
	v_mov_b32_e32 v23, v21
	s_xor_b64 exec, exec, s[14:15]
	s_cbranch_execz .LBB11_72
; %bb.71:
	ds_read_b32 v23, v24 offset:4
	s_waitcnt lgkmcnt(1)
	v_mov_b32_e32 v22, v19
.LBB11_72:
	s_or_b64 exec, exec, s[14:15]
	v_add_u32_e32 v25, 1, v20
	v_add_u32_e32 v24, 1, v18
	v_cndmask_b32_e64 v25, v25, v20, s[12:13]
	v_cndmask_b32_e64 v24, v18, v24, s[12:13]
	v_cmp_ge_i32_e64 s[16:17], v25, v16
	s_waitcnt lgkmcnt(0)
	v_cmp_gt_i32_e64 s[18:19], v23, v22
	v_cmp_lt_i32_e64 s[14:15], v24, v17
	s_or_b64 s[16:17], s[16:17], s[18:19]
	s_and_b64 s[14:15], s[14:15], s[16:17]
	s_xor_b64 s[16:17], s[14:15], -1
                                        ; implicit-def: $vgpr26
	s_and_saveexec_b64 s[18:19], s[16:17]
	s_xor_b64 s[16:17], exec, s[18:19]
; %bb.73:
	v_lshl_add_u32 v26, v25, 2, v7
	ds_read_b32 v26, v26 offset:4
; %bb.74:
	s_or_saveexec_b64 s[16:17], s[16:17]
	v_mov_b32_e32 v27, v23
	s_xor_b64 exec, exec, s[16:17]
	s_cbranch_execz .LBB11_76
; %bb.75:
	s_waitcnt lgkmcnt(0)
	v_lshl_add_u32 v26, v24, 2, v7
	ds_read_b32 v27, v26 offset:4
	v_mov_b32_e32 v26, v22
.LBB11_76:
	s_or_b64 exec, exec, s[16:17]
	v_add_u32_e32 v29, 1, v25
	v_add_u32_e32 v28, 1, v24
	v_cndmask_b32_e64 v29, v29, v25, s[14:15]
	v_cndmask_b32_e64 v28, v24, v28, s[14:15]
	v_cmp_ge_i32_e64 s[18:19], v29, v16
	s_waitcnt lgkmcnt(0)
	v_cmp_gt_i32_e64 s[20:21], v27, v26
	v_cmp_lt_i32_e64 s[16:17], v28, v17
	s_or_b64 s[18:19], s[18:19], s[20:21]
	s_and_b64 s[16:17], s[16:17], s[18:19]
	s_xor_b64 s[18:19], s[16:17], -1
                                        ; implicit-def: $vgpr30
	s_and_saveexec_b64 s[20:21], s[18:19]
	s_xor_b64 s[18:19], exec, s[20:21]
; %bb.77:
	v_lshl_add_u32 v30, v29, 2, v7
	ds_read_b32 v30, v30 offset:4
; %bb.78:
	s_or_saveexec_b64 s[18:19], s[18:19]
	v_mov_b32_e32 v31, v27
	s_xor_b64 exec, exec, s[18:19]
	s_cbranch_execz .LBB11_80
; %bb.79:
	s_waitcnt lgkmcnt(0)
	v_lshl_add_u32 v30, v28, 2, v7
	ds_read_b32 v31, v30 offset:4
	v_mov_b32_e32 v30, v26
.LBB11_80:
	s_or_b64 exec, exec, s[18:19]
	v_add_u32_e32 v33, 1, v29
	v_add_u32_e32 v32, 1, v28
	v_cndmask_b32_e64 v33, v33, v29, s[16:17]
	v_cndmask_b32_e64 v32, v28, v32, s[16:17]
	v_cmp_ge_i32_e64 s[20:21], v33, v16
	s_waitcnt lgkmcnt(0)
	v_cmp_gt_i32_e64 s[22:23], v31, v30
	v_cmp_lt_i32_e64 s[18:19], v32, v17
	s_or_b64 s[20:21], s[20:21], s[22:23]
	s_and_b64 s[18:19], s[18:19], s[20:21]
	s_xor_b64 s[20:21], s[18:19], -1
                                        ; implicit-def: $vgpr34
	s_and_saveexec_b64 s[22:23], s[20:21]
	s_xor_b64 s[20:21], exec, s[22:23]
; %bb.81:
	v_lshl_add_u32 v34, v33, 2, v7
	ds_read_b32 v34, v34 offset:4
; %bb.82:
	s_or_saveexec_b64 s[20:21], s[20:21]
	v_mov_b32_e32 v35, v31
	s_xor_b64 exec, exec, s[20:21]
	s_cbranch_execz .LBB11_84
; %bb.83:
	s_waitcnt lgkmcnt(0)
	v_lshl_add_u32 v34, v32, 2, v7
	ds_read_b32 v35, v34 offset:4
	v_mov_b32_e32 v34, v30
.LBB11_84:
	s_or_b64 exec, exec, s[20:21]
	v_add_u32_e32 v37, 1, v33
	v_add_u32_e32 v36, 1, v32
	v_cndmask_b32_e64 v37, v37, v33, s[18:19]
	v_cndmask_b32_e64 v36, v32, v36, s[18:19]
	v_cmp_ge_i32_e64 s[22:23], v37, v16
	s_waitcnt lgkmcnt(0)
	v_cmp_gt_i32_e64 s[24:25], v35, v34
	v_cmp_lt_i32_e64 s[20:21], v36, v17
	s_or_b64 s[22:23], s[22:23], s[24:25]
	s_and_b64 s[20:21], s[20:21], s[22:23]
	s_xor_b64 s[22:23], s[20:21], -1
                                        ; implicit-def: $vgpr38
	s_and_saveexec_b64 s[24:25], s[22:23]
	s_xor_b64 s[22:23], exec, s[24:25]
; %bb.85:
	v_lshl_add_u32 v38, v37, 2, v7
	ds_read_b32 v38, v38 offset:4
; %bb.86:
	s_or_saveexec_b64 s[22:23], s[22:23]
	v_mov_b32_e32 v39, v35
	s_xor_b64 exec, exec, s[22:23]
	s_cbranch_execz .LBB11_88
; %bb.87:
	s_waitcnt lgkmcnt(0)
	v_lshl_add_u32 v38, v36, 2, v7
	ds_read_b32 v39, v38 offset:4
	v_mov_b32_e32 v38, v34
.LBB11_88:
	s_or_b64 exec, exec, s[22:23]
	v_add_u32_e32 v42, 1, v37
	v_add_u32_e32 v40, 1, v36
	v_cndmask_b32_e64 v42, v42, v37, s[20:21]
	v_cndmask_b32_e64 v41, v36, v40, s[20:21]
	v_cmp_ge_i32_e64 s[24:25], v42, v16
	s_waitcnt lgkmcnt(0)
	v_cmp_gt_i32_e64 s[26:27], v39, v38
	v_cmp_lt_i32_e64 s[22:23], v41, v17
	s_or_b64 s[24:25], s[24:25], s[26:27]
	s_and_b64 s[22:23], s[22:23], s[24:25]
	s_xor_b64 s[24:25], s[22:23], -1
                                        ; implicit-def: $vgpr40
	s_and_saveexec_b64 s[26:27], s[24:25]
	s_xor_b64 s[24:25], exec, s[26:27]
; %bb.89:
	v_lshl_add_u32 v40, v42, 2, v7
	ds_read_b32 v40, v40 offset:4
; %bb.90:
	s_or_saveexec_b64 s[24:25], s[24:25]
	v_mov_b32_e32 v43, v39
	s_xor_b64 exec, exec, s[24:25]
	s_cbranch_execz .LBB11_92
; %bb.91:
	s_waitcnt lgkmcnt(0)
	v_lshl_add_u32 v40, v41, 2, v7
	ds_read_b32 v43, v40 offset:4
	v_mov_b32_e32 v40, v38
.LBB11_92:
	s_or_b64 exec, exec, s[24:25]
	v_add_u32_e32 v44, 1, v42
	v_cndmask_b32_e64 v38, v38, v39, s[22:23]
	v_add_u32_e32 v39, 1, v41
	v_cndmask_b32_e64 v44, v44, v42, s[22:23]
	v_cndmask_b32_e64 v39, v41, v39, s[22:23]
	;; [unrolled: 1-line block ×6, first 2 shown]
	v_cmp_ge_i32_e64 s[14:15], v44, v16
	s_waitcnt lgkmcnt(0)
	v_cmp_gt_i32_e64 s[16:17], v43, v40
	v_cndmask_b32_e64 v19, v19, v21, s[12:13]
	v_cndmask_b32_e64 v18, v20, v18, s[12:13]
	v_cmp_lt_i32_e64 s[12:13], v39, v17
	s_or_b64 s[14:15], s[14:15], s[16:17]
	s_and_b64 s[12:13], s[12:13], s[14:15]
	v_cndmask_b32_e64 v41, v42, v41, s[22:23]
	v_cndmask_b32_e64 v34, v34, v35, s[20:21]
	;; [unrolled: 1-line block ×7, first 2 shown]
	; wave barrier
	ds_write2_b32 v8, v4, v10 offset1:1
	ds_write2_b32 v8, v11, v12 offset0:2 offset1:3
	ds_write2_b32 v8, v13, v14 offset0:4 offset1:5
	ds_write_b32 v8, v15 offset:24
	v_lshl_add_u32 v4, v18, 2, v7
	v_lshl_add_u32 v10, v23, 2, v7
	;; [unrolled: 1-line block ×7, first 2 shown]
	; wave barrier
	ds_read_b32 v4, v4
	ds_read_b32 v10, v10
	;; [unrolled: 1-line block ×7, first 2 shown]
	; wave barrier
	ds_write2_b32 v8, v19, v22 offset1:1
	ds_write2_b32 v8, v26, v30 offset0:2 offset1:3
	ds_write2_b32 v8, v34, v38 offset0:4 offset1:5
	ds_write_b32 v8, v16 offset:24
	v_and_b32_e32 v16, 24, v9
	v_mul_u32_u24_e32 v16, 7, v16
	v_min_i32_e32 v20, v5, v16
	v_and_b32_e32 v17, 7, v9
	v_add_u32_e32 v16, 28, v20
	v_mul_u32_u24_e32 v17, 7, v17
	v_min_i32_e32 v16, v5, v16
	v_min_i32_e32 v18, v5, v17
	v_add_u32_e32 v17, 28, v16
	v_min_i32_e32 v17, v5, v17
	v_sub_u32_e32 v22, v17, v16
	v_sub_u32_e32 v21, v16, v20
	v_sub_u32_e32 v23, v18, v22
	v_cmp_ge_i32_e64 s[12:13], v18, v22
	v_cndmask_b32_e64 v22, 0, v23, s[12:13]
	v_min_i32_e32 v21, v18, v21
	v_lshl_add_u32 v19, v20, 2, v7
	v_cmp_lt_i32_e64 s[12:13], v22, v21
	; wave barrier
	s_and_saveexec_b64 s[14:15], s[12:13]
	s_cbranch_execz .LBB11_96
; %bb.93:
	v_lshlrev_b32_e32 v23, 2, v16
	v_lshlrev_b32_e32 v24, 2, v18
	v_add3_u32 v23, v7, v23, v24
	s_mov_b64 s[16:17], 0
.LBB11_94:                              ; =>This Inner Loop Header: Depth=1
	v_sub_u32_e32 v24, v21, v22
	v_lshrrev_b32_e32 v24, 1, v24
	v_add_u32_e32 v24, v24, v22
	v_not_b32_e32 v26, v24
	v_lshl_add_u32 v25, v24, 2, v19
	v_lshl_add_u32 v26, v26, 2, v23
	ds_read_b32 v25, v25
	ds_read_b32 v26, v26
	v_add_u32_e32 v27, 1, v24
	s_waitcnt lgkmcnt(0)
	v_cmp_gt_i32_e64 s[12:13], v26, v25
	v_cndmask_b32_e64 v21, v21, v24, s[12:13]
	v_cndmask_b32_e64 v22, v27, v22, s[12:13]
	v_cmp_ge_i32_e64 s[12:13], v22, v21
	s_or_b64 s[16:17], s[12:13], s[16:17]
	s_andn2_b64 exec, exec, s[16:17]
	s_cbranch_execnz .LBB11_94
; %bb.95:
	s_or_b64 exec, exec, s[16:17]
.LBB11_96:
	s_or_b64 exec, exec, s[14:15]
	v_add_u32_e32 v18, v16, v18
	v_sub_u32_e32 v18, v18, v22
	v_lshl_add_u32 v23, v22, 2, v19
	v_lshl_add_u32 v24, v18, 2, v7
	ds_read_b32 v19, v23
	ds_read_b32 v21, v24
	v_add_u32_e32 v20, v22, v20
	v_cmp_le_i32_e64 s[14:15], v16, v20
	v_cmp_gt_i32_e64 s[12:13], v17, v18
                                        ; implicit-def: $vgpr22
	s_waitcnt lgkmcnt(0)
	v_cmp_gt_i32_e64 s[16:17], v21, v19
	s_or_b64 s[14:15], s[14:15], s[16:17]
	s_and_b64 s[12:13], s[12:13], s[14:15]
	s_xor_b64 s[14:15], s[12:13], -1
	s_and_saveexec_b64 s[16:17], s[14:15]
	s_xor_b64 s[14:15], exec, s[16:17]
; %bb.97:
	ds_read_b32 v22, v23 offset:4
                                        ; implicit-def: $vgpr24
; %bb.98:
	s_or_saveexec_b64 s[14:15], s[14:15]
	v_mov_b32_e32 v23, v21
	s_xor_b64 exec, exec, s[14:15]
	s_cbranch_execz .LBB11_100
; %bb.99:
	ds_read_b32 v23, v24 offset:4
	s_waitcnt lgkmcnt(1)
	v_mov_b32_e32 v22, v19
.LBB11_100:
	s_or_b64 exec, exec, s[14:15]
	v_add_u32_e32 v25, 1, v20
	v_add_u32_e32 v24, 1, v18
	v_cndmask_b32_e64 v25, v25, v20, s[12:13]
	v_cndmask_b32_e64 v24, v18, v24, s[12:13]
	v_cmp_ge_i32_e64 s[16:17], v25, v16
	s_waitcnt lgkmcnt(0)
	v_cmp_gt_i32_e64 s[18:19], v23, v22
	v_cmp_lt_i32_e64 s[14:15], v24, v17
	s_or_b64 s[16:17], s[16:17], s[18:19]
	s_and_b64 s[14:15], s[14:15], s[16:17]
	s_xor_b64 s[16:17], s[14:15], -1
                                        ; implicit-def: $vgpr26
	s_and_saveexec_b64 s[18:19], s[16:17]
	s_xor_b64 s[16:17], exec, s[18:19]
; %bb.101:
	v_lshl_add_u32 v26, v25, 2, v7
	ds_read_b32 v26, v26 offset:4
; %bb.102:
	s_or_saveexec_b64 s[16:17], s[16:17]
	v_mov_b32_e32 v27, v23
	s_xor_b64 exec, exec, s[16:17]
	s_cbranch_execz .LBB11_104
; %bb.103:
	s_waitcnt lgkmcnt(0)
	v_lshl_add_u32 v26, v24, 2, v7
	ds_read_b32 v27, v26 offset:4
	v_mov_b32_e32 v26, v22
.LBB11_104:
	s_or_b64 exec, exec, s[16:17]
	v_add_u32_e32 v29, 1, v25
	v_add_u32_e32 v28, 1, v24
	v_cndmask_b32_e64 v29, v29, v25, s[14:15]
	v_cndmask_b32_e64 v28, v24, v28, s[14:15]
	v_cmp_ge_i32_e64 s[18:19], v29, v16
	s_waitcnt lgkmcnt(0)
	v_cmp_gt_i32_e64 s[20:21], v27, v26
	v_cmp_lt_i32_e64 s[16:17], v28, v17
	s_or_b64 s[18:19], s[18:19], s[20:21]
	s_and_b64 s[16:17], s[16:17], s[18:19]
	s_xor_b64 s[18:19], s[16:17], -1
                                        ; implicit-def: $vgpr30
	s_and_saveexec_b64 s[20:21], s[18:19]
	s_xor_b64 s[18:19], exec, s[20:21]
; %bb.105:
	v_lshl_add_u32 v30, v29, 2, v7
	ds_read_b32 v30, v30 offset:4
; %bb.106:
	s_or_saveexec_b64 s[18:19], s[18:19]
	v_mov_b32_e32 v31, v27
	s_xor_b64 exec, exec, s[18:19]
	s_cbranch_execz .LBB11_108
; %bb.107:
	s_waitcnt lgkmcnt(0)
	v_lshl_add_u32 v30, v28, 2, v7
	ds_read_b32 v31, v30 offset:4
	v_mov_b32_e32 v30, v26
.LBB11_108:
	s_or_b64 exec, exec, s[18:19]
	v_add_u32_e32 v33, 1, v29
	v_add_u32_e32 v32, 1, v28
	v_cndmask_b32_e64 v33, v33, v29, s[16:17]
	v_cndmask_b32_e64 v32, v28, v32, s[16:17]
	v_cmp_ge_i32_e64 s[20:21], v33, v16
	s_waitcnt lgkmcnt(0)
	v_cmp_gt_i32_e64 s[22:23], v31, v30
	v_cmp_lt_i32_e64 s[18:19], v32, v17
	s_or_b64 s[20:21], s[20:21], s[22:23]
	s_and_b64 s[18:19], s[18:19], s[20:21]
	s_xor_b64 s[20:21], s[18:19], -1
                                        ; implicit-def: $vgpr34
	s_and_saveexec_b64 s[22:23], s[20:21]
	s_xor_b64 s[20:21], exec, s[22:23]
; %bb.109:
	v_lshl_add_u32 v34, v33, 2, v7
	ds_read_b32 v34, v34 offset:4
; %bb.110:
	s_or_saveexec_b64 s[20:21], s[20:21]
	v_mov_b32_e32 v35, v31
	s_xor_b64 exec, exec, s[20:21]
	s_cbranch_execz .LBB11_112
; %bb.111:
	s_waitcnt lgkmcnt(0)
	v_lshl_add_u32 v34, v32, 2, v7
	ds_read_b32 v35, v34 offset:4
	v_mov_b32_e32 v34, v30
.LBB11_112:
	s_or_b64 exec, exec, s[20:21]
	v_add_u32_e32 v37, 1, v33
	v_add_u32_e32 v36, 1, v32
	v_cndmask_b32_e64 v37, v37, v33, s[18:19]
	v_cndmask_b32_e64 v36, v32, v36, s[18:19]
	v_cmp_ge_i32_e64 s[22:23], v37, v16
	s_waitcnt lgkmcnt(0)
	v_cmp_gt_i32_e64 s[24:25], v35, v34
	v_cmp_lt_i32_e64 s[20:21], v36, v17
	s_or_b64 s[22:23], s[22:23], s[24:25]
	s_and_b64 s[20:21], s[20:21], s[22:23]
	s_xor_b64 s[22:23], s[20:21], -1
                                        ; implicit-def: $vgpr38
	s_and_saveexec_b64 s[24:25], s[22:23]
	s_xor_b64 s[22:23], exec, s[24:25]
; %bb.113:
	v_lshl_add_u32 v38, v37, 2, v7
	ds_read_b32 v38, v38 offset:4
; %bb.114:
	s_or_saveexec_b64 s[22:23], s[22:23]
	v_mov_b32_e32 v39, v35
	s_xor_b64 exec, exec, s[22:23]
	s_cbranch_execz .LBB11_116
; %bb.115:
	s_waitcnt lgkmcnt(0)
	v_lshl_add_u32 v38, v36, 2, v7
	ds_read_b32 v39, v38 offset:4
	v_mov_b32_e32 v38, v34
.LBB11_116:
	s_or_b64 exec, exec, s[22:23]
	v_add_u32_e32 v42, 1, v37
	v_add_u32_e32 v40, 1, v36
	v_cndmask_b32_e64 v42, v42, v37, s[20:21]
	v_cndmask_b32_e64 v41, v36, v40, s[20:21]
	v_cmp_ge_i32_e64 s[24:25], v42, v16
	s_waitcnt lgkmcnt(0)
	v_cmp_gt_i32_e64 s[26:27], v39, v38
	v_cmp_lt_i32_e64 s[22:23], v41, v17
	s_or_b64 s[24:25], s[24:25], s[26:27]
	s_and_b64 s[22:23], s[22:23], s[24:25]
	s_xor_b64 s[24:25], s[22:23], -1
                                        ; implicit-def: $vgpr40
	s_and_saveexec_b64 s[26:27], s[24:25]
	s_xor_b64 s[24:25], exec, s[26:27]
; %bb.117:
	v_lshl_add_u32 v40, v42, 2, v7
	ds_read_b32 v40, v40 offset:4
; %bb.118:
	s_or_saveexec_b64 s[24:25], s[24:25]
	v_mov_b32_e32 v43, v39
	s_xor_b64 exec, exec, s[24:25]
	s_cbranch_execz .LBB11_120
; %bb.119:
	s_waitcnt lgkmcnt(0)
	v_lshl_add_u32 v40, v41, 2, v7
	ds_read_b32 v43, v40 offset:4
	v_mov_b32_e32 v40, v38
.LBB11_120:
	s_or_b64 exec, exec, s[24:25]
	v_add_u32_e32 v44, 1, v42
	v_cndmask_b32_e64 v38, v38, v39, s[22:23]
	v_add_u32_e32 v39, 1, v41
	v_cndmask_b32_e64 v44, v44, v42, s[22:23]
	v_cndmask_b32_e64 v39, v41, v39, s[22:23]
	;; [unrolled: 1-line block ×6, first 2 shown]
	v_cmp_ge_i32_e64 s[14:15], v44, v16
	s_waitcnt lgkmcnt(0)
	v_cmp_gt_i32_e64 s[16:17], v43, v40
	v_cndmask_b32_e64 v19, v19, v21, s[12:13]
	v_cndmask_b32_e64 v18, v20, v18, s[12:13]
	v_cmp_lt_i32_e64 s[12:13], v39, v17
	s_or_b64 s[14:15], s[14:15], s[16:17]
	s_and_b64 s[12:13], s[12:13], s[14:15]
	v_cndmask_b32_e64 v41, v42, v41, s[22:23]
	v_cndmask_b32_e64 v34, v34, v35, s[20:21]
	;; [unrolled: 1-line block ×7, first 2 shown]
	; wave barrier
	ds_write2_b32 v8, v4, v10 offset1:1
	ds_write2_b32 v8, v11, v12 offset0:2 offset1:3
	ds_write2_b32 v8, v13, v14 offset0:4 offset1:5
	ds_write_b32 v8, v15 offset:24
	v_lshl_add_u32 v4, v18, 2, v7
	v_lshl_add_u32 v10, v23, 2, v7
	;; [unrolled: 1-line block ×7, first 2 shown]
	; wave barrier
	ds_read_b32 v4, v4
	ds_read_b32 v10, v10
	;; [unrolled: 1-line block ×7, first 2 shown]
	; wave barrier
	ds_write2_b32 v8, v19, v22 offset1:1
	ds_write2_b32 v8, v26, v30 offset0:2 offset1:3
	ds_write2_b32 v8, v34, v38 offset0:4 offset1:5
	ds_write_b32 v8, v16 offset:24
	v_and_b32_e32 v16, 16, v9
	v_mul_u32_u24_e32 v16, 7, v16
	v_and_b32_e32 v9, 15, v9
	v_mul_u32_u24_e32 v9, 7, v9
	v_min_i32_e32 v19, v5, v16
	v_min_i32_e32 v17, v5, v9
	v_add_u32_e32 v9, 56, v19
	v_min_i32_e32 v9, v5, v9
	v_add_u32_e32 v16, 56, v9
	v_min_i32_e32 v16, v5, v16
	v_sub_u32_e32 v21, v16, v9
	v_sub_u32_e32 v20, v9, v19
	v_sub_u32_e32 v22, v17, v21
	v_cmp_ge_i32_e64 s[12:13], v17, v21
	v_cndmask_b32_e64 v21, 0, v22, s[12:13]
	v_min_i32_e32 v20, v17, v20
	v_lshl_add_u32 v18, v19, 2, v7
	v_cmp_lt_i32_e64 s[12:13], v21, v20
	; wave barrier
	s_and_saveexec_b64 s[14:15], s[12:13]
	s_cbranch_execz .LBB11_124
; %bb.121:
	v_lshlrev_b32_e32 v22, 2, v9
	v_lshlrev_b32_e32 v23, 2, v17
	v_add3_u32 v22, v7, v22, v23
	s_mov_b64 s[16:17], 0
.LBB11_122:                             ; =>This Inner Loop Header: Depth=1
	v_sub_u32_e32 v23, v20, v21
	v_lshrrev_b32_e32 v23, 1, v23
	v_add_u32_e32 v23, v23, v21
	v_not_b32_e32 v25, v23
	v_lshl_add_u32 v24, v23, 2, v18
	v_lshl_add_u32 v25, v25, 2, v22
	ds_read_b32 v24, v24
	ds_read_b32 v25, v25
	v_add_u32_e32 v26, 1, v23
	s_waitcnt lgkmcnt(0)
	v_cmp_gt_i32_e64 s[12:13], v25, v24
	v_cndmask_b32_e64 v20, v20, v23, s[12:13]
	v_cndmask_b32_e64 v21, v26, v21, s[12:13]
	v_cmp_ge_i32_e64 s[12:13], v21, v20
	s_or_b64 s[16:17], s[12:13], s[16:17]
	s_andn2_b64 exec, exec, s[16:17]
	s_cbranch_execnz .LBB11_122
; %bb.123:
	s_or_b64 exec, exec, s[16:17]
.LBB11_124:
	s_or_b64 exec, exec, s[14:15]
	v_add_u32_e32 v17, v9, v17
	v_sub_u32_e32 v17, v17, v21
	v_lshl_add_u32 v22, v21, 2, v18
	v_lshl_add_u32 v23, v17, 2, v7
	ds_read_b32 v18, v22
	ds_read_b32 v20, v23
	v_add_u32_e32 v19, v21, v19
	v_cmp_le_i32_e64 s[14:15], v9, v19
	v_cmp_gt_i32_e64 s[12:13], v16, v17
                                        ; implicit-def: $vgpr21
	s_waitcnt lgkmcnt(0)
	v_cmp_gt_i32_e64 s[16:17], v20, v18
	s_or_b64 s[14:15], s[14:15], s[16:17]
	s_and_b64 s[12:13], s[12:13], s[14:15]
	s_xor_b64 s[14:15], s[12:13], -1
	s_and_saveexec_b64 s[16:17], s[14:15]
	s_xor_b64 s[14:15], exec, s[16:17]
; %bb.125:
	ds_read_b32 v21, v22 offset:4
                                        ; implicit-def: $vgpr23
; %bb.126:
	s_or_saveexec_b64 s[14:15], s[14:15]
	v_mov_b32_e32 v22, v20
	s_xor_b64 exec, exec, s[14:15]
	s_cbranch_execz .LBB11_128
; %bb.127:
	ds_read_b32 v22, v23 offset:4
	s_waitcnt lgkmcnt(1)
	v_mov_b32_e32 v21, v18
.LBB11_128:
	s_or_b64 exec, exec, s[14:15]
	v_add_u32_e32 v24, 1, v19
	v_add_u32_e32 v23, 1, v17
	v_cndmask_b32_e64 v24, v24, v19, s[12:13]
	v_cndmask_b32_e64 v23, v17, v23, s[12:13]
	v_cmp_ge_i32_e64 s[16:17], v24, v9
	s_waitcnt lgkmcnt(0)
	v_cmp_gt_i32_e64 s[18:19], v22, v21
	v_cmp_lt_i32_e64 s[14:15], v23, v16
	s_or_b64 s[16:17], s[16:17], s[18:19]
	s_and_b64 s[14:15], s[14:15], s[16:17]
	s_xor_b64 s[16:17], s[14:15], -1
                                        ; implicit-def: $vgpr25
	s_and_saveexec_b64 s[18:19], s[16:17]
	s_xor_b64 s[16:17], exec, s[18:19]
; %bb.129:
	v_lshl_add_u32 v25, v24, 2, v7
	ds_read_b32 v25, v25 offset:4
; %bb.130:
	s_or_saveexec_b64 s[16:17], s[16:17]
	v_mov_b32_e32 v26, v22
	s_xor_b64 exec, exec, s[16:17]
	s_cbranch_execz .LBB11_132
; %bb.131:
	s_waitcnt lgkmcnt(0)
	v_lshl_add_u32 v25, v23, 2, v7
	ds_read_b32 v26, v25 offset:4
	v_mov_b32_e32 v25, v21
.LBB11_132:
	s_or_b64 exec, exec, s[16:17]
	v_add_u32_e32 v28, 1, v24
	v_add_u32_e32 v27, 1, v23
	v_cndmask_b32_e64 v28, v28, v24, s[14:15]
	v_cndmask_b32_e64 v27, v23, v27, s[14:15]
	v_cmp_ge_i32_e64 s[18:19], v28, v9
	s_waitcnt lgkmcnt(0)
	v_cmp_gt_i32_e64 s[20:21], v26, v25
	v_cmp_lt_i32_e64 s[16:17], v27, v16
	s_or_b64 s[18:19], s[18:19], s[20:21]
	s_and_b64 s[16:17], s[16:17], s[18:19]
	s_xor_b64 s[18:19], s[16:17], -1
                                        ; implicit-def: $vgpr29
	s_and_saveexec_b64 s[20:21], s[18:19]
	s_xor_b64 s[18:19], exec, s[20:21]
; %bb.133:
	v_lshl_add_u32 v29, v28, 2, v7
	ds_read_b32 v29, v29 offset:4
; %bb.134:
	s_or_saveexec_b64 s[18:19], s[18:19]
	v_mov_b32_e32 v30, v26
	s_xor_b64 exec, exec, s[18:19]
	s_cbranch_execz .LBB11_136
; %bb.135:
	s_waitcnt lgkmcnt(0)
	v_lshl_add_u32 v29, v27, 2, v7
	ds_read_b32 v30, v29 offset:4
	v_mov_b32_e32 v29, v25
.LBB11_136:
	s_or_b64 exec, exec, s[18:19]
	v_add_u32_e32 v32, 1, v28
	v_add_u32_e32 v31, 1, v27
	v_cndmask_b32_e64 v32, v32, v28, s[16:17]
	v_cndmask_b32_e64 v31, v27, v31, s[16:17]
	v_cmp_ge_i32_e64 s[20:21], v32, v9
	s_waitcnt lgkmcnt(0)
	v_cmp_gt_i32_e64 s[22:23], v30, v29
	v_cmp_lt_i32_e64 s[18:19], v31, v16
	s_or_b64 s[20:21], s[20:21], s[22:23]
	s_and_b64 s[18:19], s[18:19], s[20:21]
	s_xor_b64 s[20:21], s[18:19], -1
                                        ; implicit-def: $vgpr33
	s_and_saveexec_b64 s[22:23], s[20:21]
	s_xor_b64 s[20:21], exec, s[22:23]
; %bb.137:
	v_lshl_add_u32 v33, v32, 2, v7
	ds_read_b32 v33, v33 offset:4
; %bb.138:
	s_or_saveexec_b64 s[20:21], s[20:21]
	v_mov_b32_e32 v34, v30
	s_xor_b64 exec, exec, s[20:21]
	s_cbranch_execz .LBB11_140
; %bb.139:
	s_waitcnt lgkmcnt(0)
	v_lshl_add_u32 v33, v31, 2, v7
	ds_read_b32 v34, v33 offset:4
	v_mov_b32_e32 v33, v29
.LBB11_140:
	s_or_b64 exec, exec, s[20:21]
	v_add_u32_e32 v36, 1, v32
	v_add_u32_e32 v35, 1, v31
	v_cndmask_b32_e64 v36, v36, v32, s[18:19]
	v_cndmask_b32_e64 v35, v31, v35, s[18:19]
	v_cmp_ge_i32_e64 s[22:23], v36, v9
	s_waitcnt lgkmcnt(0)
	v_cmp_gt_i32_e64 s[24:25], v34, v33
	v_cmp_lt_i32_e64 s[20:21], v35, v16
	s_or_b64 s[22:23], s[22:23], s[24:25]
	s_and_b64 s[20:21], s[20:21], s[22:23]
	s_xor_b64 s[22:23], s[20:21], -1
                                        ; implicit-def: $vgpr37
	s_and_saveexec_b64 s[24:25], s[22:23]
	s_xor_b64 s[22:23], exec, s[24:25]
; %bb.141:
	v_lshl_add_u32 v37, v36, 2, v7
	ds_read_b32 v37, v37 offset:4
; %bb.142:
	s_or_saveexec_b64 s[22:23], s[22:23]
	v_mov_b32_e32 v38, v34
	s_xor_b64 exec, exec, s[22:23]
	s_cbranch_execz .LBB11_144
; %bb.143:
	s_waitcnt lgkmcnt(0)
	v_lshl_add_u32 v37, v35, 2, v7
	ds_read_b32 v38, v37 offset:4
	v_mov_b32_e32 v37, v33
.LBB11_144:
	s_or_b64 exec, exec, s[22:23]
	v_add_u32_e32 v41, 1, v36
	v_add_u32_e32 v39, 1, v35
	v_cndmask_b32_e64 v41, v41, v36, s[20:21]
	v_cndmask_b32_e64 v40, v35, v39, s[20:21]
	v_cmp_ge_i32_e64 s[24:25], v41, v9
	s_waitcnt lgkmcnt(0)
	v_cmp_gt_i32_e64 s[26:27], v38, v37
	v_cmp_lt_i32_e64 s[22:23], v40, v16
	s_or_b64 s[24:25], s[24:25], s[26:27]
	s_and_b64 s[22:23], s[22:23], s[24:25]
	s_xor_b64 s[24:25], s[22:23], -1
                                        ; implicit-def: $vgpr39
	s_and_saveexec_b64 s[26:27], s[24:25]
	s_xor_b64 s[24:25], exec, s[26:27]
; %bb.145:
	v_lshl_add_u32 v39, v41, 2, v7
	ds_read_b32 v39, v39 offset:4
; %bb.146:
	s_or_saveexec_b64 s[24:25], s[24:25]
	v_mov_b32_e32 v42, v38
	s_xor_b64 exec, exec, s[24:25]
	s_cbranch_execz .LBB11_148
; %bb.147:
	s_waitcnt lgkmcnt(0)
	v_lshl_add_u32 v39, v40, 2, v7
	ds_read_b32 v42, v39 offset:4
	v_mov_b32_e32 v39, v37
.LBB11_148:
	s_or_b64 exec, exec, s[24:25]
	v_add_u32_e32 v43, 1, v41
	v_cndmask_b32_e64 v37, v37, v38, s[22:23]
	v_add_u32_e32 v38, 1, v40
	v_cndmask_b32_e64 v43, v43, v41, s[22:23]
	v_cndmask_b32_e64 v38, v40, v38, s[22:23]
	v_cndmask_b32_e64 v25, v25, v26, s[16:17]
	v_cndmask_b32_e64 v26, v28, v27, s[16:17]
	v_cndmask_b32_e64 v21, v21, v22, s[14:15]
	v_cndmask_b32_e64 v22, v24, v23, s[14:15]
	v_cmp_ge_i32_e64 s[14:15], v43, v9
	s_waitcnt lgkmcnt(0)
	v_cmp_gt_i32_e64 s[16:17], v42, v39
	v_cndmask_b32_e64 v18, v18, v20, s[12:13]
	v_cndmask_b32_e64 v17, v19, v17, s[12:13]
	v_cmp_lt_i32_e64 s[12:13], v38, v16
	s_or_b64 s[14:15], s[14:15], s[16:17]
	v_cndmask_b32_e64 v40, v41, v40, s[22:23]
	v_cndmask_b32_e64 v33, v33, v34, s[20:21]
	v_cndmask_b32_e64 v34, v36, v35, s[20:21]
	v_cndmask_b32_e64 v29, v29, v30, s[18:19]
	v_cndmask_b32_e64 v30, v32, v31, s[18:19]
	s_and_b64 s[12:13], s[12:13], s[14:15]
	v_cndmask_b32_e64 v9, v43, v38, s[12:13]
	; wave barrier
	ds_write2_b32 v8, v4, v10 offset1:1
	ds_write2_b32 v8, v11, v12 offset0:2 offset1:3
	ds_write2_b32 v8, v13, v14 offset0:4 offset1:5
	ds_write_b32 v8, v15 offset:24
	v_lshl_add_u32 v4, v17, 2, v7
	v_lshl_add_u32 v10, v22, 2, v7
	;; [unrolled: 1-line block ×6, first 2 shown]
	; wave barrier
	v_lshl_add_u32 v15, v9, 2, v7
	ds_read_b32 v4, v4
	ds_read_b32 v9, v10
	;; [unrolled: 1-line block ×7, first 2 shown]
	v_min_i32_e32 v17, 0, v5
	v_min_i32_e32 v15, v5, v6
	v_add_u32_e32 v6, 0x70, v17
	v_cndmask_b32_e64 v16, v39, v42, s[12:13]
	v_min_i32_e32 v6, v5, v6
	; wave barrier
	ds_write2_b32 v8, v18, v21 offset1:1
	ds_write2_b32 v8, v25, v29 offset0:2 offset1:3
	ds_write2_b32 v8, v33, v37 offset0:4 offset1:5
	ds_write_b32 v8, v16 offset:24
	v_add_u32_e32 v16, 0x70, v6
	v_min_i32_e32 v5, v5, v16
	v_sub_u32_e32 v18, v5, v6
	v_sub_u32_e32 v19, v6, v17
	;; [unrolled: 1-line block ×3, first 2 shown]
	v_cmp_ge_i32_e64 s[12:13], v15, v18
	v_cndmask_b32_e64 v18, 0, v20, s[12:13]
	v_min_i32_e32 v19, v15, v19
	v_lshl_add_u32 v16, v17, 2, v7
	v_cmp_lt_i32_e64 s[12:13], v18, v19
	; wave barrier
	s_and_saveexec_b64 s[14:15], s[12:13]
	s_cbranch_execz .LBB11_152
; %bb.149:
	v_lshlrev_b32_e32 v20, 2, v6
	v_lshlrev_b32_e32 v21, 2, v15
	v_add3_u32 v20, v7, v20, v21
	s_mov_b64 s[16:17], 0
.LBB11_150:                             ; =>This Inner Loop Header: Depth=1
	v_sub_u32_e32 v21, v19, v18
	v_lshrrev_b32_e32 v21, 1, v21
	v_add_u32_e32 v21, v21, v18
	v_not_b32_e32 v23, v21
	v_lshl_add_u32 v22, v21, 2, v16
	v_lshl_add_u32 v23, v23, 2, v20
	ds_read_b32 v22, v22
	ds_read_b32 v23, v23
	v_add_u32_e32 v24, 1, v21
	s_waitcnt lgkmcnt(0)
	v_cmp_gt_i32_e64 s[12:13], v23, v22
	v_cndmask_b32_e64 v19, v19, v21, s[12:13]
	v_cndmask_b32_e64 v18, v24, v18, s[12:13]
	v_cmp_ge_i32_e64 s[12:13], v18, v19
	s_or_b64 s[16:17], s[12:13], s[16:17]
	s_andn2_b64 exec, exec, s[16:17]
	s_cbranch_execnz .LBB11_150
; %bb.151:
	s_or_b64 exec, exec, s[16:17]
.LBB11_152:
	s_or_b64 exec, exec, s[14:15]
	v_add_u32_e32 v15, v6, v15
	v_sub_u32_e32 v20, v15, v18
	v_lshl_add_u32 v22, v18, 2, v16
	v_lshl_add_u32 v19, v20, 2, v7
	ds_read_b32 v15, v22
	ds_read_b32 v16, v19
	v_add_u32_e32 v21, v18, v17
	v_cmp_le_i32_e64 s[14:15], v6, v21
	v_cmp_gt_i32_e64 s[12:13], v5, v20
                                        ; implicit-def: $vgpr17
	s_waitcnt lgkmcnt(0)
	v_cmp_gt_i32_e64 s[16:17], v16, v15
	s_or_b64 s[14:15], s[14:15], s[16:17]
	s_and_b64 s[12:13], s[12:13], s[14:15]
	s_xor_b64 s[14:15], s[12:13], -1
	s_and_saveexec_b64 s[16:17], s[14:15]
	s_xor_b64 s[14:15], exec, s[16:17]
; %bb.153:
	ds_read_b32 v17, v22 offset:4
                                        ; implicit-def: $vgpr19
; %bb.154:
	s_or_saveexec_b64 s[14:15], s[14:15]
	v_mov_b32_e32 v18, v16
	s_xor_b64 exec, exec, s[14:15]
	s_cbranch_execz .LBB11_156
; %bb.155:
	ds_read_b32 v18, v19 offset:4
	s_waitcnt lgkmcnt(1)
	v_mov_b32_e32 v17, v15
.LBB11_156:
	s_or_b64 exec, exec, s[14:15]
	v_add_u32_e32 v22, 1, v21
	v_add_u32_e32 v19, 1, v20
	v_cndmask_b32_e64 v26, v22, v21, s[12:13]
	v_cndmask_b32_e64 v25, v20, v19, s[12:13]
	v_cmp_ge_i32_e64 s[16:17], v26, v6
	s_waitcnt lgkmcnt(0)
	v_cmp_gt_i32_e64 s[18:19], v18, v17
	v_cmp_lt_i32_e64 s[14:15], v25, v5
	s_or_b64 s[16:17], s[16:17], s[18:19]
	s_and_b64 s[14:15], s[14:15], s[16:17]
	s_xor_b64 s[16:17], s[14:15], -1
                                        ; implicit-def: $vgpr19
	s_and_saveexec_b64 s[18:19], s[16:17]
	s_xor_b64 s[16:17], exec, s[18:19]
; %bb.157:
	v_lshl_add_u32 v19, v26, 2, v7
	ds_read_b32 v19, v19 offset:4
; %bb.158:
	s_or_saveexec_b64 s[16:17], s[16:17]
	v_mov_b32_e32 v22, v18
	s_xor_b64 exec, exec, s[16:17]
	s_cbranch_execz .LBB11_160
; %bb.159:
	s_waitcnt lgkmcnt(0)
	v_lshl_add_u32 v19, v25, 2, v7
	ds_read_b32 v22, v19 offset:4
	v_mov_b32_e32 v19, v17
.LBB11_160:
	s_or_b64 exec, exec, s[16:17]
	v_add_u32_e32 v24, 1, v26
	v_add_u32_e32 v23, 1, v25
	v_cndmask_b32_e64 v31, v24, v26, s[14:15]
	v_cndmask_b32_e64 v30, v25, v23, s[14:15]
	v_cmp_ge_i32_e64 s[18:19], v31, v6
	s_waitcnt lgkmcnt(0)
	v_cmp_gt_i32_e64 s[20:21], v22, v19
	v_cmp_lt_i32_e64 s[16:17], v30, v5
	s_or_b64 s[18:19], s[18:19], s[20:21]
	s_and_b64 s[16:17], s[16:17], s[18:19]
	s_xor_b64 s[18:19], s[16:17], -1
                                        ; implicit-def: $vgpr23
	s_and_saveexec_b64 s[20:21], s[18:19]
	s_xor_b64 s[18:19], exec, s[20:21]
; %bb.161:
	v_lshl_add_u32 v23, v31, 2, v7
	ds_read_b32 v23, v23 offset:4
; %bb.162:
	s_or_saveexec_b64 s[18:19], s[18:19]
	v_mov_b32_e32 v24, v22
	s_xor_b64 exec, exec, s[18:19]
	s_cbranch_execz .LBB11_164
; %bb.163:
	s_waitcnt lgkmcnt(0)
	v_lshl_add_u32 v23, v30, 2, v7
	ds_read_b32 v24, v23 offset:4
	v_mov_b32_e32 v23, v19
.LBB11_164:
	s_or_b64 exec, exec, s[18:19]
	v_add_u32_e32 v28, 1, v31
	v_add_u32_e32 v27, 1, v30
	v_cndmask_b32_e64 v35, v28, v31, s[16:17]
	v_cndmask_b32_e64 v34, v30, v27, s[16:17]
	v_cmp_ge_i32_e64 s[20:21], v35, v6
	s_waitcnt lgkmcnt(0)
	v_cmp_gt_i32_e64 s[22:23], v24, v23
	v_cmp_lt_i32_e64 s[18:19], v34, v5
	s_or_b64 s[20:21], s[20:21], s[22:23]
	s_and_b64 s[18:19], s[18:19], s[20:21]
	s_xor_b64 s[20:21], s[18:19], -1
                                        ; implicit-def: $vgpr27
	s_and_saveexec_b64 s[22:23], s[20:21]
	s_xor_b64 s[20:21], exec, s[22:23]
; %bb.165:
	v_lshl_add_u32 v27, v35, 2, v7
	ds_read_b32 v27, v27 offset:4
; %bb.166:
	s_or_saveexec_b64 s[20:21], s[20:21]
	v_mov_b32_e32 v28, v24
	s_xor_b64 exec, exec, s[20:21]
	s_cbranch_execz .LBB11_168
; %bb.167:
	s_waitcnt lgkmcnt(0)
	v_lshl_add_u32 v27, v34, 2, v7
	ds_read_b32 v28, v27 offset:4
	v_mov_b32_e32 v27, v23
.LBB11_168:
	s_or_b64 exec, exec, s[20:21]
	v_add_u32_e32 v32, 1, v35
	v_add_u32_e32 v29, 1, v34
	v_cndmask_b32_e64 v38, v32, v35, s[18:19]
	v_cndmask_b32_e64 v37, v34, v29, s[18:19]
	v_cmp_ge_i32_e64 s[22:23], v38, v6
	s_waitcnt lgkmcnt(0)
	v_cmp_gt_i32_e64 s[24:25], v28, v27
	v_cmp_lt_i32_e64 s[20:21], v37, v5
	s_or_b64 s[22:23], s[22:23], s[24:25]
	s_and_b64 s[20:21], s[20:21], s[22:23]
	s_xor_b64 s[22:23], s[20:21], -1
                                        ; implicit-def: $vgpr29
	s_and_saveexec_b64 s[24:25], s[22:23]
	s_xor_b64 s[22:23], exec, s[24:25]
; %bb.169:
	v_lshl_add_u32 v29, v38, 2, v7
	ds_read_b32 v29, v29 offset:4
; %bb.170:
	s_or_saveexec_b64 s[22:23], s[22:23]
	v_mov_b32_e32 v32, v28
	s_xor_b64 exec, exec, s[22:23]
	s_cbranch_execz .LBB11_172
; %bb.171:
	s_waitcnt lgkmcnt(0)
	v_lshl_add_u32 v29, v37, 2, v7
	ds_read_b32 v32, v29 offset:4
	v_mov_b32_e32 v29, v27
.LBB11_172:
	s_or_b64 exec, exec, s[22:23]
	v_add_u32_e32 v36, 1, v38
	v_add_u32_e32 v33, 1, v37
	v_cndmask_b32_e64 v42, v36, v38, s[20:21]
	v_cndmask_b32_e64 v39, v37, v33, s[20:21]
	v_cmp_ge_i32_e64 s[24:25], v42, v6
	s_waitcnt lgkmcnt(0)
	v_cmp_gt_i32_e64 s[26:27], v32, v29
	v_cmp_lt_i32_e64 s[22:23], v39, v5
	s_or_b64 s[24:25], s[24:25], s[26:27]
	s_and_b64 s[22:23], s[22:23], s[24:25]
	s_xor_b64 s[24:25], s[22:23], -1
                                        ; implicit-def: $vgpr33
                                        ; implicit-def: $vgpr41
	s_and_saveexec_b64 s[26:27], s[24:25]
	s_xor_b64 s[24:25], exec, s[26:27]
; %bb.173:
	v_lshl_add_u32 v33, v42, 2, v7
	ds_read_b32 v33, v33 offset:4
	v_add_u32_e32 v41, 1, v42
; %bb.174:
	s_or_saveexec_b64 s[24:25], s[24:25]
	v_mov_b32_e32 v40, v42
	v_mov_b32_e32 v36, v32
	s_xor_b64 exec, exec, s[24:25]
	s_cbranch_execz .LBB11_176
; %bb.175:
	v_lshl_add_u32 v36, v39, 2, v7
	ds_read_b32 v36, v36 offset:4
	s_waitcnt lgkmcnt(1)
	v_add_u32_e32 v33, 1, v39
	v_mov_b32_e32 v40, v39
	v_mov_b32_e32 v41, v42
	;; [unrolled: 1-line block ×4, first 2 shown]
.LBB11_176:
	s_or_b64 exec, exec, s[24:25]
	v_cmp_ge_i32_e64 s[26:27], v41, v6
	s_waitcnt lgkmcnt(0)
	v_cmp_gt_i32_e64 s[28:29], v36, v33
	v_cmp_lt_i32_e64 s[24:25], v39, v5
	s_or_b64 s[26:27], s[26:27], s[28:29]
	v_cndmask_b32_e64 v30, v31, v30, s[16:17]
	v_cndmask_b32_e64 v25, v26, v25, s[14:15]
	;; [unrolled: 1-line block ×3, first 2 shown]
	s_and_b64 s[24:25], s[24:25], s[26:27]
	v_cndmask_b32_e64 v37, v38, v37, s[20:21]
	v_cndmask_b32_e64 v34, v35, v34, s[18:19]
	;; [unrolled: 1-line block ×3, first 2 shown]
	; wave barrier
	ds_write2_b32 v8, v4, v9 offset1:1
	ds_write2_b32 v8, v10, v11 offset0:2 offset1:3
	ds_write2_b32 v8, v12, v13 offset0:4 offset1:5
	ds_write_b32 v8, v14 offset:24
	v_lshl_add_u32 v4, v20, 2, v7
	v_lshl_add_u32 v6, v25, 2, v7
	;; [unrolled: 1-line block ×3, first 2 shown]
	; wave barrier
	v_lshl_add_u32 v11, v34, 2, v7
	v_lshl_add_u32 v12, v37, 2, v7
	;; [unrolled: 1-line block ×4, first 2 shown]
	ds_read_b32 v10, v4
	ds_read_b32 v9, v6
	;; [unrolled: 1-line block ×7, first 2 shown]
	s_and_saveexec_b64 s[26:27], vcc
	s_cbranch_execnz .LBB11_191
; %bb.177:
	s_or_b64 exec, exec, s[26:27]
	s_and_saveexec_b64 s[12:13], s[0:1]
	s_cbranch_execnz .LBB11_192
.LBB11_178:
	s_or_b64 exec, exec, s[12:13]
	s_and_saveexec_b64 s[12:13], s[2:3]
	s_cbranch_execnz .LBB11_193
.LBB11_179:
	s_or_b64 exec, exec, s[12:13]
	s_and_saveexec_b64 s[12:13], s[4:5]
	s_cbranch_execnz .LBB11_194
.LBB11_180:
	s_or_b64 exec, exec, s[12:13]
	s_and_saveexec_b64 s[12:13], s[6:7]
	s_cbranch_execnz .LBB11_195
.LBB11_181:
	s_or_b64 exec, exec, s[12:13]
	s_and_saveexec_b64 s[12:13], s[8:9]
	s_cbranch_execnz .LBB11_196
.LBB11_182:
	s_or_b64 exec, exec, s[12:13]
	s_and_saveexec_b64 s[12:13], s[10:11]
	s_cbranch_execnz .LBB11_197
.LBB11_183:
	s_or_b64 exec, exec, s[12:13]
	s_and_saveexec_b64 s[12:13], vcc
	s_cbranch_execnz .LBB11_198
.LBB11_184:
	s_or_b64 exec, exec, s[12:13]
	s_and_saveexec_b64 s[12:13], s[0:1]
	s_cbranch_execnz .LBB11_199
.LBB11_185:
	s_or_b64 exec, exec, s[12:13]
	s_and_saveexec_b64 s[0:1], s[2:3]
	s_cbranch_execnz .LBB11_200
.LBB11_186:
	s_or_b64 exec, exec, s[0:1]
	s_and_saveexec_b64 s[0:1], s[4:5]
	s_cbranch_execnz .LBB11_201
.LBB11_187:
	s_or_b64 exec, exec, s[0:1]
	s_and_saveexec_b64 s[0:1], s[6:7]
	s_cbranch_execnz .LBB11_202
.LBB11_188:
	s_or_b64 exec, exec, s[0:1]
	s_and_saveexec_b64 s[0:1], s[8:9]
	s_cbranch_execnz .LBB11_203
.LBB11_189:
	s_or_b64 exec, exec, s[0:1]
	s_and_saveexec_b64 s[0:1], s[10:11]
	s_cbranch_execnz .LBB11_204
.LBB11_190:
	s_endpgm
.LBB11_191:
	v_cndmask_b32_e64 v11, v15, v16, s[12:13]
	global_store_dword v[0:1], v11, off
	s_or_b64 exec, exec, s[26:27]
	s_and_saveexec_b64 s[12:13], s[0:1]
	s_cbranch_execz .LBB11_178
.LBB11_192:
	v_cndmask_b32_e64 v11, v17, v18, s[14:15]
	global_store_dword v[0:1], v11, off offset:4
	s_or_b64 exec, exec, s[12:13]
	s_and_saveexec_b64 s[12:13], s[2:3]
	s_cbranch_execz .LBB11_179
.LBB11_193:
	v_cndmask_b32_e64 v11, v19, v22, s[16:17]
	global_store_dword v[0:1], v11, off offset:8
	s_or_b64 exec, exec, s[12:13]
	s_and_saveexec_b64 s[12:13], s[4:5]
	s_cbranch_execz .LBB11_180
.LBB11_194:
	v_cndmask_b32_e64 v11, v23, v24, s[18:19]
	global_store_dword v[0:1], v11, off offset:12
	s_or_b64 exec, exec, s[12:13]
	s_and_saveexec_b64 s[12:13], s[6:7]
	s_cbranch_execz .LBB11_181
.LBB11_195:
	v_cndmask_b32_e64 v11, v27, v28, s[20:21]
	global_store_dword v[0:1], v11, off offset:16
	s_or_b64 exec, exec, s[12:13]
	s_and_saveexec_b64 s[12:13], s[8:9]
	s_cbranch_execz .LBB11_182
.LBB11_196:
	v_cndmask_b32_e64 v11, v29, v32, s[22:23]
	global_store_dword v[0:1], v11, off offset:20
	s_or_b64 exec, exec, s[12:13]
	s_and_saveexec_b64 s[12:13], s[10:11]
	s_cbranch_execz .LBB11_183
.LBB11_197:
	v_cndmask_b32_e64 v11, v33, v36, s[24:25]
	global_store_dword v[0:1], v11, off offset:24
	s_or_b64 exec, exec, s[12:13]
	s_and_saveexec_b64 s[12:13], vcc
	s_cbranch_execz .LBB11_184
.LBB11_198:
	s_waitcnt lgkmcnt(6)
	global_store_dword v[2:3], v10, off
	s_or_b64 exec, exec, s[12:13]
	s_and_saveexec_b64 s[12:13], s[0:1]
	s_cbranch_execz .LBB11_185
.LBB11_199:
	s_waitcnt lgkmcnt(5)
	global_store_dword v[2:3], v9, off offset:4
	s_or_b64 exec, exec, s[12:13]
	s_and_saveexec_b64 s[0:1], s[2:3]
	s_cbranch_execz .LBB11_186
.LBB11_200:
	s_waitcnt lgkmcnt(4)
	global_store_dword v[2:3], v8, off offset:8
	s_or_b64 exec, exec, s[0:1]
	s_and_saveexec_b64 s[0:1], s[4:5]
	s_cbranch_execz .LBB11_187
.LBB11_201:
	s_waitcnt lgkmcnt(3)
	global_store_dword v[2:3], v7, off offset:12
	s_or_b64 exec, exec, s[0:1]
	s_and_saveexec_b64 s[0:1], s[6:7]
	s_cbranch_execz .LBB11_188
.LBB11_202:
	s_waitcnt lgkmcnt(2)
	global_store_dword v[2:3], v6, off offset:16
	s_or_b64 exec, exec, s[0:1]
	s_and_saveexec_b64 s[0:1], s[8:9]
	s_cbranch_execz .LBB11_189
.LBB11_203:
	s_waitcnt lgkmcnt(1)
	global_store_dword v[2:3], v5, off offset:20
	s_or_b64 exec, exec, s[0:1]
	s_and_saveexec_b64 s[0:1], s[10:11]
	s_cbranch_execz .LBB11_190
.LBB11_204:
	s_waitcnt lgkmcnt(0)
	global_store_dword v[2:3], v4, off offset:24
	s_endpgm
	.section	.rodata,"a",@progbits
	.p2align	6, 0x0
	.amdhsa_kernel _Z26sort_keys_values_segmentedILj256ELj32ELj7ELb0EiN10test_utils16custom_test_typeIsEENS0_7greaterEEvPT3_PT4_PKjT5_
		.amdhsa_group_segment_fixed_size 7200
		.amdhsa_private_segment_fixed_size 0
		.amdhsa_kernarg_size 28
		.amdhsa_user_sgpr_count 6
		.amdhsa_user_sgpr_private_segment_buffer 1
		.amdhsa_user_sgpr_dispatch_ptr 0
		.amdhsa_user_sgpr_queue_ptr 0
		.amdhsa_user_sgpr_kernarg_segment_ptr 1
		.amdhsa_user_sgpr_dispatch_id 0
		.amdhsa_user_sgpr_flat_scratch_init 0
		.amdhsa_user_sgpr_private_segment_size 0
		.amdhsa_uses_dynamic_stack 0
		.amdhsa_system_sgpr_private_segment_wavefront_offset 0
		.amdhsa_system_sgpr_workgroup_id_x 1
		.amdhsa_system_sgpr_workgroup_id_y 0
		.amdhsa_system_sgpr_workgroup_id_z 0
		.amdhsa_system_sgpr_workgroup_info 0
		.amdhsa_system_vgpr_workitem_id 0
		.amdhsa_next_free_vgpr 45
		.amdhsa_next_free_sgpr 61
		.amdhsa_reserve_vcc 1
		.amdhsa_reserve_flat_scratch 0
		.amdhsa_float_round_mode_32 0
		.amdhsa_float_round_mode_16_64 0
		.amdhsa_float_denorm_mode_32 3
		.amdhsa_float_denorm_mode_16_64 3
		.amdhsa_dx10_clamp 1
		.amdhsa_ieee_mode 1
		.amdhsa_fp16_overflow 0
		.amdhsa_exception_fp_ieee_invalid_op 0
		.amdhsa_exception_fp_denorm_src 0
		.amdhsa_exception_fp_ieee_div_zero 0
		.amdhsa_exception_fp_ieee_overflow 0
		.amdhsa_exception_fp_ieee_underflow 0
		.amdhsa_exception_fp_ieee_inexact 0
		.amdhsa_exception_int_div_zero 0
	.end_amdhsa_kernel
	.section	.text._Z26sort_keys_values_segmentedILj256ELj32ELj7ELb0EiN10test_utils16custom_test_typeIsEENS0_7greaterEEvPT3_PT4_PKjT5_,"axG",@progbits,_Z26sort_keys_values_segmentedILj256ELj32ELj7ELb0EiN10test_utils16custom_test_typeIsEENS0_7greaterEEvPT3_PT4_PKjT5_,comdat
.Lfunc_end11:
	.size	_Z26sort_keys_values_segmentedILj256ELj32ELj7ELb0EiN10test_utils16custom_test_typeIsEENS0_7greaterEEvPT3_PT4_PKjT5_, .Lfunc_end11-_Z26sort_keys_values_segmentedILj256ELj32ELj7ELb0EiN10test_utils16custom_test_typeIsEENS0_7greaterEEvPT3_PT4_PKjT5_
                                        ; -- End function
	.set _Z26sort_keys_values_segmentedILj256ELj32ELj7ELb0EiN10test_utils16custom_test_typeIsEENS0_7greaterEEvPT3_PT4_PKjT5_.num_vgpr, 45
	.set _Z26sort_keys_values_segmentedILj256ELj32ELj7ELb0EiN10test_utils16custom_test_typeIsEENS0_7greaterEEvPT3_PT4_PKjT5_.num_agpr, 0
	.set _Z26sort_keys_values_segmentedILj256ELj32ELj7ELb0EiN10test_utils16custom_test_typeIsEENS0_7greaterEEvPT3_PT4_PKjT5_.numbered_sgpr, 30
	.set _Z26sort_keys_values_segmentedILj256ELj32ELj7ELb0EiN10test_utils16custom_test_typeIsEENS0_7greaterEEvPT3_PT4_PKjT5_.num_named_barrier, 0
	.set _Z26sort_keys_values_segmentedILj256ELj32ELj7ELb0EiN10test_utils16custom_test_typeIsEENS0_7greaterEEvPT3_PT4_PKjT5_.private_seg_size, 0
	.set _Z26sort_keys_values_segmentedILj256ELj32ELj7ELb0EiN10test_utils16custom_test_typeIsEENS0_7greaterEEvPT3_PT4_PKjT5_.uses_vcc, 1
	.set _Z26sort_keys_values_segmentedILj256ELj32ELj7ELb0EiN10test_utils16custom_test_typeIsEENS0_7greaterEEvPT3_PT4_PKjT5_.uses_flat_scratch, 0
	.set _Z26sort_keys_values_segmentedILj256ELj32ELj7ELb0EiN10test_utils16custom_test_typeIsEENS0_7greaterEEvPT3_PT4_PKjT5_.has_dyn_sized_stack, 0
	.set _Z26sort_keys_values_segmentedILj256ELj32ELj7ELb0EiN10test_utils16custom_test_typeIsEENS0_7greaterEEvPT3_PT4_PKjT5_.has_recursion, 0
	.set _Z26sort_keys_values_segmentedILj256ELj32ELj7ELb0EiN10test_utils16custom_test_typeIsEENS0_7greaterEEvPT3_PT4_PKjT5_.has_indirect_call, 0
	.section	.AMDGPU.csdata,"",@progbits
; Kernel info:
; codeLenInByte = 9004
; TotalNumSgprs: 34
; NumVgprs: 45
; ScratchSize: 0
; MemoryBound: 0
; FloatMode: 240
; IeeeMode: 1
; LDSByteSize: 7200 bytes/workgroup (compile time only)
; SGPRBlocks: 8
; VGPRBlocks: 11
; NumSGPRsForWavesPerEU: 65
; NumVGPRsForWavesPerEU: 45
; Occupancy: 5
; WaveLimiterHint : 0
; COMPUTE_PGM_RSRC2:SCRATCH_EN: 0
; COMPUTE_PGM_RSRC2:USER_SGPR: 6
; COMPUTE_PGM_RSRC2:TRAP_HANDLER: 0
; COMPUTE_PGM_RSRC2:TGID_X_EN: 1
; COMPUTE_PGM_RSRC2:TGID_Y_EN: 0
; COMPUTE_PGM_RSRC2:TGID_Z_EN: 0
; COMPUTE_PGM_RSRC2:TIDIG_COMP_CNT: 0
	.section	.text._Z26sort_keys_values_segmentedILj256ELj8ELj4ELb1ExsN10test_utils4lessEEvPT3_PT4_PKjT5_,"axG",@progbits,_Z26sort_keys_values_segmentedILj256ELj8ELj4ELb1ExsN10test_utils4lessEEvPT3_PT4_PKjT5_,comdat
	.protected	_Z26sort_keys_values_segmentedILj256ELj8ELj4ELb1ExsN10test_utils4lessEEvPT3_PT4_PKjT5_ ; -- Begin function _Z26sort_keys_values_segmentedILj256ELj8ELj4ELb1ExsN10test_utils4lessEEvPT3_PT4_PKjT5_
	.globl	_Z26sort_keys_values_segmentedILj256ELj8ELj4ELb1ExsN10test_utils4lessEEvPT3_PT4_PKjT5_
	.p2align	8
	.type	_Z26sort_keys_values_segmentedILj256ELj8ELj4ELb1ExsN10test_utils4lessEEvPT3_PT4_PKjT5_,@function
_Z26sort_keys_values_segmentedILj256ELj8ELj4ELb1ExsN10test_utils4lessEEvPT3_PT4_PKjT5_: ; @_Z26sort_keys_values_segmentedILj256ELj8ELj4ELb1ExsN10test_utils4lessEEvPT3_PT4_PKjT5_
; %bb.0:
	s_load_dwordx2 s[0:1], s[4:5], 0x10
	v_lshrrev_b32_e32 v16, 3, v0
	v_lshl_or_b32 v2, s6, 5, v16
	v_mov_b32_e32 v3, 0
	v_lshlrev_b64 v[0:1], 2, v[2:3]
	s_waitcnt lgkmcnt(0)
	v_mov_b32_e32 v4, s1
	v_add_co_u32_e32 v0, vcc, s0, v0
	v_addc_co_u32_e32 v1, vcc, v4, v1, vcc
	global_load_dword v22, v[0:1], off
	s_load_dwordx4 s[4:7], s[4:5], 0x0
	v_mbcnt_lo_u32_b32 v0, -1, 0
	v_lshlrev_b32_e32 v2, 5, v2
	v_mbcnt_hi_u32_b32 v4, -1, v0
	v_lshlrev_b64 v[0:1], 3, v[2:3]
	v_lshlrev_b32_e32 v25, 2, v4
	s_waitcnt lgkmcnt(0)
	v_mov_b32_e32 v5, s5
	v_add_co_u32_e32 v0, vcc, s4, v0
	v_and_b32_e32 v23, 28, v25
	v_addc_co_u32_e32 v1, vcc, v5, v1, vcc
	v_lshlrev_b32_e32 v17, 3, v23
	v_add_co_u32_e32 v0, vcc, v0, v17
	v_addc_co_u32_e32 v1, vcc, 0, v1, vcc
                                        ; implicit-def: $vgpr6_vgpr7
	s_waitcnt vmcnt(0)
	v_cmp_lt_u32_e32 vcc, v23, v22
	s_and_saveexec_b64 s[0:1], vcc
	s_cbranch_execz .LBB12_2
; %bb.1:
	global_load_dwordx2 v[6:7], v[0:1], off
.LBB12_2:
	s_or_b64 exec, exec, s[0:1]
	v_or_b32_e32 v14, 1, v23
	v_cmp_lt_u32_e64 s[0:1], v14, v22
                                        ; implicit-def: $vgpr8_vgpr9
	s_and_saveexec_b64 s[2:3], s[0:1]
	s_cbranch_execz .LBB12_4
; %bb.3:
	global_load_dwordx2 v[8:9], v[0:1], off offset:8
.LBB12_4:
	s_or_b64 exec, exec, s[2:3]
	v_or_b32_e32 v18, 2, v23
	v_cmp_lt_u32_e64 s[2:3], v18, v22
                                        ; implicit-def: $vgpr10_vgpr11
	s_and_saveexec_b64 s[4:5], s[2:3]
	s_cbranch_execz .LBB12_6
; %bb.5:
	global_load_dwordx2 v[10:11], v[0:1], off offset:16
.LBB12_6:
	s_or_b64 exec, exec, s[4:5]
	v_or_b32_e32 v19, 3, v23
	v_cmp_lt_u32_e64 s[4:5], v19, v22
                                        ; implicit-def: $vgpr12_vgpr13
	s_and_saveexec_b64 s[8:9], s[4:5]
	s_cbranch_execz .LBB12_8
; %bb.7:
	global_load_dwordx2 v[12:13], v[0:1], off offset:24
.LBB12_8:
	s_or_b64 exec, exec, s[8:9]
	v_lshlrev_b64 v[2:3], 1, v[2:3]
	v_mov_b32_e32 v4, s7
	v_add_co_u32_e64 v2, s[6:7], s6, v2
	v_addc_co_u32_e64 v3, s[6:7], v4, v3, s[6:7]
	v_lshlrev_b32_e32 v5, 1, v23
	v_mov_b32_e32 v4, 0
	v_add_co_u32_e64 v2, s[6:7], v2, v5
	v_addc_co_u32_e64 v3, s[6:7], 0, v3, s[6:7]
	v_mov_b32_e32 v5, v4
	s_and_saveexec_b64 s[6:7], vcc
	s_cbranch_execnz .LBB12_74
; %bb.9:
	s_or_b64 exec, exec, s[6:7]
	s_and_saveexec_b64 s[6:7], s[0:1]
	s_cbranch_execnz .LBB12_75
.LBB12_10:
	s_or_b64 exec, exec, s[6:7]
	s_and_saveexec_b64 s[6:7], s[2:3]
	s_cbranch_execnz .LBB12_76
.LBB12_11:
	s_or_b64 exec, exec, s[6:7]
	s_and_saveexec_b64 s[6:7], s[4:5]
	s_cbranch_execz .LBB12_13
.LBB12_12:
	global_load_ushort v15, v[2:3], off offset:6
	s_mov_b32 s8, 0x5040100
	s_waitcnt vmcnt(0)
	v_perm_b32 v5, v15, v5, s8
.LBB12_13:
	s_or_b64 exec, exec, s[6:7]
	v_bfrev_b32_e32 v20, -2
	v_cmp_lt_i32_e64 s[6:7], v14, v22
	s_waitcnt vmcnt(0)
	v_cndmask_b32_e64 v15, v20, v9, s[6:7]
	v_cndmask_b32_e64 v14, -1, v8, s[6:7]
	v_cmp_lt_i32_e64 s[6:7], v18, v22
	v_cndmask_b32_e64 v9, v20, v11, s[6:7]
	v_cndmask_b32_e64 v8, -1, v10, s[6:7]
	v_cmp_lt_i32_e64 s[6:7], v19, v22
	;; [unrolled: 3-line block ×3, first 2 shown]
	s_and_saveexec_b64 s[8:9], s[6:7]
	s_cbranch_execz .LBB12_17
; %bb.14:
	v_cmp_gt_i64_e64 s[6:7], v[14:15], v[6:7]
	v_alignbit_b32 v20, v4, v4, 16
	v_cndmask_b32_e64 v19, v7, v15, s[6:7]
	v_cndmask_b32_e64 v18, v6, v14, s[6:7]
	v_cmp_lt_i64_e64 s[6:7], v[14:15], v[6:7]
	s_mov_b32 s12, 0x5040100
	v_cndmask_b32_e64 v13, v7, v15, s[6:7]
	v_cndmask_b32_e64 v12, v6, v14, s[6:7]
	;; [unrolled: 1-line block ×3, first 2 shown]
	v_cmp_gt_i64_e64 s[6:7], v[10:11], v[8:9]
	v_alignbit_b32 v20, v5, v5, 16
	v_cndmask_b32_e64 v15, v9, v11, s[6:7]
	v_cndmask_b32_e64 v14, v8, v10, s[6:7]
	v_cmp_lt_i64_e64 s[6:7], v[10:11], v[8:9]
	s_mov_b32 s13, 0x7060302
	v_cndmask_b32_e64 v7, v9, v11, s[6:7]
	v_cndmask_b32_e64 v6, v8, v10, s[6:7]
	;; [unrolled: 1-line block ×3, first 2 shown]
	v_cmp_gt_i64_e64 s[6:7], v[6:7], v[18:19]
	v_perm_b32 v10, v5, v4, s12
	v_cndmask_b32_e64 v9, v19, v7, s[6:7]
	v_cndmask_b32_e64 v8, v18, v6, s[6:7]
	v_cmp_lt_i64_e64 s[6:7], v[6:7], v[18:19]
	v_perm_b32 v11, v5, v4, s13
	v_cndmask_b32_e64 v5, v5, v11, s[6:7]
	v_cndmask_b32_e64 v4, v4, v10, s[6:7]
	;; [unrolled: 1-line block ×4, first 2 shown]
	v_cmp_lt_i64_e64 s[6:7], v[6:7], v[12:13]
	v_alignbit_b32 v20, v4, v4, 16
	v_cndmask_b32_e64 v7, v13, v11, s[6:7]
	v_cndmask_b32_e64 v6, v12, v10, s[6:7]
	;; [unrolled: 1-line block ×5, first 2 shown]
	v_cmp_gt_i64_e64 s[6:7], v[14:15], v[8:9]
	v_alignbit_b32 v20, v5, v5, 16
	v_cndmask_b32_e64 v11, v9, v15, s[6:7]
	v_cndmask_b32_e64 v10, v8, v14, s[6:7]
	v_cmp_lt_i64_e64 s[6:7], v[14:15], v[8:9]
	v_cndmask_b32_e64 v9, v9, v15, s[6:7]
	v_cndmask_b32_e64 v8, v8, v14, s[6:7]
	v_cmp_gt_i64_e64 s[6:7], v[18:19], v[14:15]
	v_mov_b32_e32 v15, v13
	v_cndmask_b32_e64 v5, v5, v20, s[6:7]
	v_cmp_lt_i64_e64 s[6:7], v[8:9], v[12:13]
	v_mov_b32_e32 v14, v12
	s_and_saveexec_b64 s[10:11], s[6:7]
; %bb.15:
	v_perm_b32 v14, v5, v4, s12
	v_perm_b32 v15, v5, v4, s13
	v_mov_b32_e32 v4, v14
	v_mov_b32_e32 v5, v15
	;; [unrolled: 1-line block ×6, first 2 shown]
; %bb.16:
	s_or_b64 exec, exec, s[10:11]
.LBB12_17:
	s_or_b64 exec, exec, s[8:9]
	s_movk_i32 s6, 0x108
	v_mad_u32_u24 v26, v16, s6, v17
	; wave barrier
	ds_write2_b64 v26, v[6:7], v[14:15] offset1:1
	ds_write2_b64 v26, v[8:9], v[10:11] offset0:2 offset1:3
	v_and_b32_e32 v7, 24, v25
	v_min_i32_e32 v10, v22, v7
	v_add_u32_e32 v7, 4, v10
	v_min_i32_e32 v27, v22, v7
	v_add_u32_e32 v7, 4, v27
	v_and_b32_e32 v6, 4, v25
	v_min_i32_e32 v28, v22, v7
	v_min_i32_e32 v6, v22, v6
	v_sub_u32_e32 v9, v28, v27
	v_lshlrev_b32_e32 v7, 3, v10
	v_sub_u32_e32 v8, v27, v10
	v_mad_u32_u24 v7, v16, s6, v7
	v_sub_u32_e32 v11, v6, v9
	v_cmp_ge_i32_e64 s[6:7], v6, v9
	v_cndmask_b32_e64 v11, 0, v11, s[6:7]
	v_min_i32_e32 v8, v6, v8
	v_mul_u32_u24_e32 v24, 0x108, v16
	v_cmp_lt_i32_e64 s[6:7], v11, v8
	; wave barrier
	s_and_saveexec_b64 s[8:9], s[6:7]
	s_cbranch_execz .LBB12_21
; %bb.18:
	v_lshlrev_b32_e32 v9, 3, v27
	v_lshlrev_b32_e32 v12, 3, v6
	v_add3_u32 v9, v24, v9, v12
	s_mov_b64 s[10:11], 0
.LBB12_19:                              ; =>This Inner Loop Header: Depth=1
	v_sub_u32_e32 v12, v8, v11
	v_lshrrev_b32_e32 v12, 1, v12
	v_add_u32_e32 v16, v12, v11
	v_not_b32_e32 v13, v16
	v_lshl_add_u32 v12, v16, 3, v7
	v_lshl_add_u32 v14, v13, 3, v9
	ds_read_b64 v[12:13], v12
	ds_read_b64 v[14:15], v14
	v_add_u32_e32 v17, 1, v16
	s_waitcnt lgkmcnt(0)
	v_cmp_lt_i64_e64 s[6:7], v[14:15], v[12:13]
	v_cndmask_b32_e64 v8, v8, v16, s[6:7]
	v_cndmask_b32_e64 v11, v17, v11, s[6:7]
	v_cmp_ge_i32_e64 s[6:7], v11, v8
	s_or_b64 s[10:11], s[6:7], s[10:11]
	s_andn2_b64 exec, exec, s[10:11]
	s_cbranch_execnz .LBB12_19
; %bb.20:
	s_or_b64 exec, exec, s[10:11]
.LBB12_21:
	s_or_b64 exec, exec, s[8:9]
	v_add_u32_e32 v6, v27, v6
	v_sub_u32_e32 v29, v6, v11
	v_lshl_add_u32 v12, v11, 3, v7
	v_lshl_add_u32 v14, v29, 3, v24
	ds_read_b64 v[6:7], v12
	ds_read_b64 v[8:9], v14
	v_add_u32_e32 v30, v11, v10
	v_cmp_le_i32_e64 s[10:11], v27, v30
	v_cmp_gt_i32_e64 s[6:7], v28, v29
                                        ; implicit-def: $vgpr10_vgpr11
	s_waitcnt lgkmcnt(0)
	v_cmp_lt_i64_e64 s[8:9], v[8:9], v[6:7]
	s_or_b64 s[8:9], s[10:11], s[8:9]
	s_and_b64 s[6:7], s[6:7], s[8:9]
	s_xor_b64 s[8:9], s[6:7], -1
	s_and_saveexec_b64 s[10:11], s[8:9]
	s_xor_b64 s[8:9], exec, s[10:11]
; %bb.22:
	ds_read_b64 v[10:11], v12 offset:8
                                        ; implicit-def: $vgpr14
; %bb.23:
	s_or_saveexec_b64 s[8:9], s[8:9]
	v_mov_b32_e32 v13, v9
	v_mov_b32_e32 v12, v8
	s_xor_b64 exec, exec, s[8:9]
	s_cbranch_execz .LBB12_25
; %bb.24:
	ds_read_b64 v[12:13], v14 offset:8
	s_waitcnt lgkmcnt(1)
	v_mov_b32_e32 v11, v7
	v_mov_b32_e32 v10, v6
.LBB12_25:
	s_or_b64 exec, exec, s[8:9]
	v_add_u32_e32 v15, 1, v30
	v_add_u32_e32 v14, 1, v29
	v_cndmask_b32_e64 v32, v15, v30, s[6:7]
	s_waitcnt lgkmcnt(0)
	v_cmp_lt_i64_e64 s[10:11], v[12:13], v[10:11]
	v_cndmask_b32_e64 v31, v29, v14, s[6:7]
	v_cmp_ge_i32_e64 s[12:13], v32, v27
	v_cmp_lt_i32_e64 s[8:9], v31, v28
	s_or_b64 s[10:11], s[12:13], s[10:11]
	s_and_b64 s[8:9], s[8:9], s[10:11]
	s_xor_b64 s[10:11], s[8:9], -1
                                        ; implicit-def: $vgpr14_vgpr15
	s_and_saveexec_b64 s[12:13], s[10:11]
	s_xor_b64 s[10:11], exec, s[12:13]
; %bb.26:
	v_lshl_add_u32 v14, v32, 3, v24
	ds_read_b64 v[14:15], v14 offset:8
; %bb.27:
	s_or_saveexec_b64 s[10:11], s[10:11]
	v_mov_b32_e32 v17, v13
	v_mov_b32_e32 v16, v12
	s_xor_b64 exec, exec, s[10:11]
	s_cbranch_execz .LBB12_29
; %bb.28:
	s_waitcnt lgkmcnt(0)
	v_lshl_add_u32 v14, v31, 3, v24
	ds_read_b64 v[16:17], v14 offset:8
	v_mov_b32_e32 v15, v11
	v_mov_b32_e32 v14, v10
.LBB12_29:
	s_or_b64 exec, exec, s[10:11]
	v_add_u32_e32 v19, 1, v32
	v_add_u32_e32 v18, 1, v31
	v_cndmask_b32_e64 v34, v19, v32, s[8:9]
	s_waitcnt lgkmcnt(0)
	v_cmp_lt_i64_e64 s[12:13], v[16:17], v[14:15]
	v_cndmask_b32_e64 v33, v31, v18, s[8:9]
	v_cmp_ge_i32_e64 s[14:15], v34, v27
	v_cmp_lt_i32_e64 s[10:11], v33, v28
	s_or_b64 s[12:13], s[14:15], s[12:13]
	s_and_b64 s[10:11], s[10:11], s[12:13]
	s_xor_b64 s[12:13], s[10:11], -1
                                        ; implicit-def: $vgpr18_vgpr19
	s_and_saveexec_b64 s[14:15], s[12:13]
	s_xor_b64 s[12:13], exec, s[14:15]
; %bb.30:
	v_lshl_add_u32 v18, v34, 3, v24
	ds_read_b64 v[18:19], v18 offset:8
; %bb.31:
	s_or_saveexec_b64 s[12:13], s[12:13]
	v_mov_b32_e32 v21, v17
	v_mov_b32_e32 v20, v16
	s_xor_b64 exec, exec, s[12:13]
	s_cbranch_execz .LBB12_33
; %bb.32:
	s_waitcnt lgkmcnt(0)
	v_lshl_add_u32 v18, v33, 3, v24
	ds_read_b64 v[20:21], v18 offset:8
	v_mov_b32_e32 v19, v15
	v_mov_b32_e32 v18, v14
.LBB12_33:
	s_or_b64 exec, exec, s[12:13]
	v_cndmask_b32_e64 v15, v15, v17, s[10:11]
	v_add_u32_e32 v17, 1, v34
	v_cndmask_b32_e64 v14, v14, v16, s[10:11]
	v_add_u32_e32 v16, 1, v33
	v_cndmask_b32_e64 v17, v17, v34, s[10:11]
	v_cndmask_b32_e64 v11, v11, v13, s[8:9]
	;; [unrolled: 1-line block ×4, first 2 shown]
	s_waitcnt lgkmcnt(0)
	v_cmp_lt_i64_e64 s[8:9], v[20:21], v[18:19]
	v_cndmask_b32_e64 v16, v33, v16, s[10:11]
	v_cndmask_b32_e64 v33, v34, v33, s[10:11]
	v_cmp_ge_i32_e64 s[10:11], v17, v27
	v_cndmask_b32_e64 v7, v7, v9, s[6:7]
	v_cndmask_b32_e64 v6, v6, v8, s[6:7]
	;; [unrolled: 1-line block ×3, first 2 shown]
	v_cmp_lt_i32_e64 s[6:7], v16, v28
	s_or_b64 s[8:9], s[10:11], s[8:9]
	s_and_b64 s[6:7], s[6:7], s[8:9]
	v_cndmask_b32_e64 v16, v17, v16, s[6:7]
	v_mad_i32_i24 v17, v23, -6, v26
	; wave barrier
	ds_write_b64 v17, v[4:5]
	v_lshl_add_u32 v4, v13, 1, v24
	v_lshl_add_u32 v5, v12, 1, v24
	v_cndmask_b32_e64 v9, v19, v21, s[6:7]
	v_cndmask_b32_e64 v8, v18, v20, s[6:7]
	; wave barrier
	v_lshl_add_u32 v12, v33, 1, v24
	v_lshl_add_u32 v13, v16, 1, v24
	ds_read_u16 v21, v4
	ds_read_u16 v27, v5
	;; [unrolled: 1-line block ×4, first 2 shown]
	v_and_b32_e32 v5, 16, v25
	; wave barrier
	ds_write2_b64 v26, v[6:7], v[10:11] offset1:1
	ds_write2_b64 v26, v[14:15], v[8:9] offset0:2 offset1:3
	v_min_i32_e32 v8, v22, v5
	v_add_u32_e32 v5, 8, v8
	v_min_i32_e32 v20, v22, v5
	v_add_u32_e32 v5, 8, v20
	v_and_b32_e32 v4, 12, v25
	v_min_i32_e32 v25, v22, v5
	v_min_i32_e32 v4, v22, v4
	v_sub_u32_e32 v7, v25, v20
	v_sub_u32_e32 v6, v20, v8
	;; [unrolled: 1-line block ×3, first 2 shown]
	v_cmp_ge_i32_e64 s[6:7], v4, v7
	v_cndmask_b32_e64 v9, 0, v9, s[6:7]
	v_min_i32_e32 v6, v4, v6
	v_lshl_add_u32 v5, v8, 3, v24
	v_cmp_lt_i32_e64 s[6:7], v9, v6
	; wave barrier
	s_and_saveexec_b64 s[8:9], s[6:7]
	s_cbranch_execz .LBB12_37
; %bb.34:
	v_lshlrev_b32_e32 v7, 3, v20
	v_lshlrev_b32_e32 v10, 3, v4
	v_add3_u32 v7, v24, v7, v10
	s_mov_b64 s[10:11], 0
.LBB12_35:                              ; =>This Inner Loop Header: Depth=1
	v_sub_u32_e32 v10, v6, v9
	v_lshrrev_b32_e32 v10, 1, v10
	v_add_u32_e32 v14, v10, v9
	v_not_b32_e32 v11, v14
	v_lshl_add_u32 v10, v14, 3, v5
	v_lshl_add_u32 v12, v11, 3, v7
	ds_read_b64 v[10:11], v10
	ds_read_b64 v[12:13], v12
	v_add_u32_e32 v15, 1, v14
	s_waitcnt lgkmcnt(0)
	v_cmp_lt_i64_e64 s[6:7], v[12:13], v[10:11]
	v_cndmask_b32_e64 v6, v6, v14, s[6:7]
	v_cndmask_b32_e64 v9, v15, v9, s[6:7]
	v_cmp_ge_i32_e64 s[6:7], v9, v6
	s_or_b64 s[10:11], s[6:7], s[10:11]
	s_andn2_b64 exec, exec, s[10:11]
	s_cbranch_execnz .LBB12_35
; %bb.36:
	s_or_b64 exec, exec, s[10:11]
.LBB12_37:
	s_or_b64 exec, exec, s[8:9]
	v_add_u32_e32 v4, v20, v4
	v_sub_u32_e32 v31, v4, v9
	v_lshl_add_u32 v10, v9, 3, v5
	v_lshl_add_u32 v12, v31, 3, v24
	ds_read_b64 v[4:5], v10
	ds_read_b64 v[6:7], v12
	v_add_u32_e32 v32, v9, v8
	v_cmp_le_i32_e64 s[10:11], v20, v32
	v_cmp_gt_i32_e64 s[6:7], v25, v31
	v_mul_i32_i24_e32 v30, -6, v23
	s_waitcnt lgkmcnt(0)
	v_cmp_lt_i64_e64 s[8:9], v[6:7], v[4:5]
                                        ; implicit-def: $vgpr8_vgpr9
	s_or_b64 s[8:9], s[10:11], s[8:9]
	s_and_b64 s[6:7], s[6:7], s[8:9]
	s_xor_b64 s[8:9], s[6:7], -1
	s_and_saveexec_b64 s[10:11], s[8:9]
	s_xor_b64 s[8:9], exec, s[10:11]
; %bb.38:
	ds_read_b64 v[8:9], v10 offset:8
                                        ; implicit-def: $vgpr12
; %bb.39:
	s_or_saveexec_b64 s[8:9], s[8:9]
	v_mov_b32_e32 v11, v7
	v_mov_b32_e32 v10, v6
	s_xor_b64 exec, exec, s[8:9]
	s_cbranch_execz .LBB12_41
; %bb.40:
	ds_read_b64 v[10:11], v12 offset:8
	s_waitcnt lgkmcnt(1)
	v_mov_b32_e32 v9, v5
	v_mov_b32_e32 v8, v4
.LBB12_41:
	s_or_b64 exec, exec, s[8:9]
	v_add_u32_e32 v13, 1, v32
	v_add_u32_e32 v12, 1, v31
	v_cndmask_b32_e64 v34, v13, v32, s[6:7]
	s_waitcnt lgkmcnt(0)
	v_cmp_lt_i64_e64 s[10:11], v[10:11], v[8:9]
	v_cndmask_b32_e64 v33, v31, v12, s[6:7]
	v_cmp_ge_i32_e64 s[12:13], v34, v20
	v_cmp_lt_i32_e64 s[8:9], v33, v25
	s_or_b64 s[10:11], s[12:13], s[10:11]
	s_and_b64 s[8:9], s[8:9], s[10:11]
	s_xor_b64 s[10:11], s[8:9], -1
                                        ; implicit-def: $vgpr12_vgpr13
	s_and_saveexec_b64 s[12:13], s[10:11]
	s_xor_b64 s[10:11], exec, s[12:13]
; %bb.42:
	v_lshl_add_u32 v12, v34, 3, v24
	ds_read_b64 v[12:13], v12 offset:8
; %bb.43:
	s_or_saveexec_b64 s[10:11], s[10:11]
	v_mov_b32_e32 v15, v11
	v_mov_b32_e32 v14, v10
	s_xor_b64 exec, exec, s[10:11]
	s_cbranch_execz .LBB12_45
; %bb.44:
	s_waitcnt lgkmcnt(0)
	v_lshl_add_u32 v12, v33, 3, v24
	ds_read_b64 v[14:15], v12 offset:8
	v_mov_b32_e32 v13, v9
	v_mov_b32_e32 v12, v8
.LBB12_45:
	s_or_b64 exec, exec, s[10:11]
	v_add_u32_e32 v17, 1, v34
	v_add_u32_e32 v16, 1, v33
	v_cndmask_b32_e64 v36, v17, v34, s[8:9]
	s_waitcnt lgkmcnt(0)
	v_cmp_lt_i64_e64 s[12:13], v[14:15], v[12:13]
	v_cndmask_b32_e64 v35, v33, v16, s[8:9]
	v_cmp_ge_i32_e64 s[14:15], v36, v20
	v_cmp_lt_i32_e64 s[10:11], v35, v25
	s_or_b64 s[12:13], s[14:15], s[12:13]
	s_and_b64 s[10:11], s[10:11], s[12:13]
	s_xor_b64 s[12:13], s[10:11], -1
                                        ; implicit-def: $vgpr16_vgpr17
	s_and_saveexec_b64 s[14:15], s[12:13]
	s_xor_b64 s[12:13], exec, s[14:15]
; %bb.46:
	v_lshl_add_u32 v16, v36, 3, v24
	ds_read_b64 v[16:17], v16 offset:8
; %bb.47:
	s_or_saveexec_b64 s[12:13], s[12:13]
	v_mov_b32_e32 v19, v15
	v_mov_b32_e32 v18, v14
	s_xor_b64 exec, exec, s[12:13]
	s_cbranch_execz .LBB12_49
; %bb.48:
	s_waitcnt lgkmcnt(0)
	v_lshl_add_u32 v16, v35, 3, v24
	ds_read_b64 v[18:19], v16 offset:8
	v_mov_b32_e32 v17, v13
	v_mov_b32_e32 v16, v12
.LBB12_49:
	s_or_b64 exec, exec, s[12:13]
	v_cndmask_b32_e64 v13, v13, v15, s[10:11]
	v_add_u32_e32 v15, 1, v36
	v_cndmask_b32_e64 v12, v12, v14, s[10:11]
	v_add_u32_e32 v14, 1, v35
	v_cndmask_b32_e64 v15, v15, v36, s[10:11]
	v_cndmask_b32_e64 v9, v9, v11, s[8:9]
	;; [unrolled: 1-line block ×4, first 2 shown]
	s_waitcnt lgkmcnt(0)
	v_cmp_lt_i64_e64 s[8:9], v[18:19], v[16:17]
	v_cndmask_b32_e64 v14, v35, v14, s[10:11]
	v_cndmask_b32_e64 v35, v36, v35, s[10:11]
	v_cmp_ge_i32_e64 s[10:11], v15, v20
	v_cndmask_b32_e64 v5, v5, v7, s[6:7]
	v_cndmask_b32_e64 v4, v4, v6, s[6:7]
	;; [unrolled: 1-line block ×3, first 2 shown]
	v_cmp_lt_i32_e64 s[6:7], v14, v25
	s_or_b64 s[8:9], s[10:11], s[8:9]
	s_and_b64 s[6:7], s[6:7], s[8:9]
	v_cndmask_b32_e64 v7, v17, v19, s[6:7]
	v_cndmask_b32_e64 v6, v16, v18, s[6:7]
	;; [unrolled: 1-line block ×3, first 2 shown]
	s_mov_b32 s6, 0x5040100
	v_add_u32_e32 v20, v26, v30
	v_perm_b32 v11, v29, v28, s6
	v_perm_b32 v10, v27, v21, s6
	; wave barrier
	ds_write_b64 v20, v[10:11]
	v_lshl_add_u32 v10, v31, 1, v24
	; wave barrier
	v_lshl_add_u32 v11, v33, 1, v24
	v_lshl_add_u32 v15, v35, 1, v24
	;; [unrolled: 1-line block ×3, first 2 shown]
	ds_read_u16 v21, v10
	ds_read_u16 v25, v11
	;; [unrolled: 1-line block ×4, first 2 shown]
	; wave barrier
	ds_write2_b64 v26, v[4:5], v[8:9] offset1:1
	ds_write2_b64 v26, v[12:13], v[6:7] offset0:2 offset1:3
	v_min_i32_e32 v6, 0, v22
	v_add_u32_e32 v5, 16, v6
	v_min_i32_e32 v4, v22, v23
	v_min_i32_e32 v23, v22, v5
	v_add_u32_e32 v5, 16, v23
	v_min_i32_e32 v22, v22, v5
	v_sub_u32_e32 v7, v22, v23
	v_sub_u32_e32 v8, v23, v6
	;; [unrolled: 1-line block ×3, first 2 shown]
	v_cmp_ge_i32_e64 s[6:7], v4, v7
	v_cndmask_b32_e64 v7, 0, v9, s[6:7]
	v_min_i32_e32 v8, v4, v8
	v_lshl_add_u32 v5, v6, 3, v24
	v_cmp_lt_i32_e64 s[6:7], v7, v8
	; wave barrier
	s_and_saveexec_b64 s[8:9], s[6:7]
	s_cbranch_execz .LBB12_53
; %bb.50:
	v_lshlrev_b32_e32 v9, 3, v23
	v_lshlrev_b32_e32 v10, 3, v4
	v_add3_u32 v9, v24, v9, v10
	s_mov_b64 s[10:11], 0
.LBB12_51:                              ; =>This Inner Loop Header: Depth=1
	v_sub_u32_e32 v10, v8, v7
	v_lshrrev_b32_e32 v10, 1, v10
	v_add_u32_e32 v14, v10, v7
	v_not_b32_e32 v11, v14
	v_lshl_add_u32 v10, v14, 3, v5
	v_lshl_add_u32 v12, v11, 3, v9
	ds_read_b64 v[10:11], v10
	ds_read_b64 v[12:13], v12
	v_add_u32_e32 v15, 1, v14
	s_waitcnt lgkmcnt(0)
	v_cmp_lt_i64_e64 s[6:7], v[12:13], v[10:11]
	v_cndmask_b32_e64 v8, v8, v14, s[6:7]
	v_cndmask_b32_e64 v7, v15, v7, s[6:7]
	v_cmp_ge_i32_e64 s[6:7], v7, v8
	s_or_b64 s[10:11], s[6:7], s[10:11]
	s_andn2_b64 exec, exec, s[10:11]
	s_cbranch_execnz .LBB12_51
; %bb.52:
	s_or_b64 exec, exec, s[10:11]
.LBB12_53:
	s_or_b64 exec, exec, s[8:9]
	v_add_u32_e32 v4, v23, v4
	v_sub_u32_e32 v26, v4, v7
	v_lshl_add_u32 v10, v7, 3, v5
	v_lshl_add_u32 v12, v26, 3, v24
	ds_read_b64 v[4:5], v10
	ds_read_b64 v[8:9], v12
	v_add_u32_e32 v29, v7, v6
	v_cmp_le_i32_e64 s[10:11], v23, v29
	v_cmp_gt_i32_e64 s[6:7], v22, v26
                                        ; implicit-def: $vgpr6_vgpr7
	s_waitcnt lgkmcnt(0)
	v_cmp_lt_i64_e64 s[8:9], v[8:9], v[4:5]
	s_or_b64 s[8:9], s[10:11], s[8:9]
	s_and_b64 s[6:7], s[6:7], s[8:9]
	s_xor_b64 s[8:9], s[6:7], -1
	s_and_saveexec_b64 s[10:11], s[8:9]
	s_xor_b64 s[8:9], exec, s[10:11]
; %bb.54:
	ds_read_b64 v[6:7], v10 offset:8
                                        ; implicit-def: $vgpr12
; %bb.55:
	s_or_saveexec_b64 s[8:9], s[8:9]
	v_mov_b32_e32 v11, v9
	v_mov_b32_e32 v10, v8
	s_xor_b64 exec, exec, s[8:9]
	s_cbranch_execz .LBB12_57
; %bb.56:
	ds_read_b64 v[10:11], v12 offset:8
	s_waitcnt lgkmcnt(1)
	v_mov_b32_e32 v7, v5
	v_mov_b32_e32 v6, v4
.LBB12_57:
	s_or_b64 exec, exec, s[8:9]
	v_add_u32_e32 v13, 1, v29
	v_add_u32_e32 v12, 1, v26
	v_cndmask_b32_e64 v31, v13, v29, s[6:7]
	s_waitcnt lgkmcnt(0)
	v_cmp_lt_i64_e64 s[10:11], v[10:11], v[6:7]
	v_cndmask_b32_e64 v30, v26, v12, s[6:7]
	v_cmp_ge_i32_e64 s[12:13], v31, v23
	v_cmp_lt_i32_e64 s[8:9], v30, v22
	s_or_b64 s[10:11], s[12:13], s[10:11]
	s_and_b64 s[8:9], s[8:9], s[10:11]
	s_xor_b64 s[10:11], s[8:9], -1
                                        ; implicit-def: $vgpr12_vgpr13
	s_and_saveexec_b64 s[12:13], s[10:11]
	s_xor_b64 s[10:11], exec, s[12:13]
; %bb.58:
	v_lshl_add_u32 v12, v31, 3, v24
	ds_read_b64 v[12:13], v12 offset:8
; %bb.59:
	s_or_saveexec_b64 s[10:11], s[10:11]
	v_mov_b32_e32 v15, v11
	v_mov_b32_e32 v14, v10
	s_xor_b64 exec, exec, s[10:11]
	s_cbranch_execz .LBB12_61
; %bb.60:
	s_waitcnt lgkmcnt(0)
	v_lshl_add_u32 v12, v30, 3, v24
	ds_read_b64 v[14:15], v12 offset:8
	v_mov_b32_e32 v13, v7
	v_mov_b32_e32 v12, v6
.LBB12_61:
	s_or_b64 exec, exec, s[10:11]
	v_add_u32_e32 v17, 1, v31
	v_add_u32_e32 v16, 1, v30
	v_cndmask_b32_e64 v35, v17, v31, s[8:9]
	s_waitcnt lgkmcnt(0)
	v_cmp_lt_i64_e64 s[12:13], v[14:15], v[12:13]
	v_cndmask_b32_e64 v32, v30, v16, s[8:9]
	v_cmp_ge_i32_e64 s[14:15], v35, v23
	v_cmp_lt_i32_e64 s[10:11], v32, v22
	s_or_b64 s[12:13], s[14:15], s[12:13]
	s_and_b64 s[10:11], s[10:11], s[12:13]
	s_xor_b64 s[12:13], s[10:11], -1
                                        ; implicit-def: $vgpr16_vgpr17
                                        ; implicit-def: $vgpr34
	s_and_saveexec_b64 s[14:15], s[12:13]
	s_xor_b64 s[12:13], exec, s[14:15]
; %bb.62:
	v_lshl_add_u32 v16, v35, 3, v24
	ds_read_b64 v[16:17], v16 offset:8
	v_add_u32_e32 v34, 1, v35
; %bb.63:
	s_or_saveexec_b64 s[12:13], s[12:13]
	v_mov_b32_e32 v19, v15
	v_mov_b32_e32 v33, v35
	;; [unrolled: 1-line block ×3, first 2 shown]
	s_xor_b64 exec, exec, s[12:13]
	s_cbranch_execz .LBB12_65
; %bb.64:
	s_waitcnt lgkmcnt(0)
	v_lshl_add_u32 v17, v32, 3, v24
	ds_read_b64 v[18:19], v17 offset:8
	v_add_u32_e32 v16, 1, v32
	v_mov_b32_e32 v33, v32
	v_mov_b32_e32 v32, v16
	v_mov_b32_e32 v17, v13
	v_mov_b32_e32 v34, v35
	v_mov_b32_e32 v16, v12
.LBB12_65:
	s_or_b64 exec, exec, s[12:13]
	s_waitcnt lgkmcnt(0)
	v_cmp_lt_i64_e64 s[14:15], v[18:19], v[16:17]
	v_cmp_ge_i32_e64 s[16:17], v34, v23
	v_cmp_lt_i32_e64 s[12:13], v32, v22
	s_or_b64 s[14:15], s[16:17], s[14:15]
	s_and_b64 s[12:13], s[12:13], s[14:15]
	s_mov_b32 s14, 0x5040100
	v_cndmask_b32_e64 v30, v31, v30, s[8:9]
	v_cndmask_b32_e64 v26, v29, v26, s[6:7]
	v_perm_b32 v22, v28, v27, s14
	v_perm_b32 v21, v25, v21, s14
	v_cndmask_b32_e64 v23, v34, v32, s[12:13]
	; wave barrier
	ds_write_b64 v20, v[21:22]
	v_lshl_add_u32 v20, v26, 1, v24
	v_lshl_add_u32 v21, v30, 1, v24
	; wave barrier
	v_lshl_add_u32 v25, v33, 1, v24
	v_lshl_add_u32 v24, v23, 1, v24
	ds_read_u16 v23, v20
	ds_read_u16 v22, v21
	;; [unrolled: 1-line block ×4, first 2 shown]
	s_and_saveexec_b64 s[14:15], vcc
	s_cbranch_execnz .LBB12_77
; %bb.66:
	s_or_b64 exec, exec, s[14:15]
	s_and_saveexec_b64 s[6:7], s[0:1]
	s_cbranch_execnz .LBB12_78
.LBB12_67:
	s_or_b64 exec, exec, s[6:7]
	s_and_saveexec_b64 s[6:7], s[2:3]
	s_cbranch_execnz .LBB12_79
.LBB12_68:
	s_or_b64 exec, exec, s[6:7]
	s_and_saveexec_b64 s[6:7], s[4:5]
	s_cbranch_execnz .LBB12_80
.LBB12_69:
	s_or_b64 exec, exec, s[6:7]
	s_and_saveexec_b64 s[6:7], vcc
	s_cbranch_execnz .LBB12_81
.LBB12_70:
	s_or_b64 exec, exec, s[6:7]
	s_and_saveexec_b64 s[6:7], s[0:1]
	s_cbranch_execnz .LBB12_82
.LBB12_71:
	s_or_b64 exec, exec, s[6:7]
	s_and_saveexec_b64 s[0:1], s[2:3]
	s_cbranch_execnz .LBB12_83
.LBB12_72:
	s_or_b64 exec, exec, s[0:1]
	s_and_saveexec_b64 s[0:1], s[4:5]
	s_cbranch_execnz .LBB12_84
.LBB12_73:
	s_endpgm
.LBB12_74:
	global_load_ushort v5, v[2:3], off
	v_mov_b32_e32 v21, v4
	s_waitcnt vmcnt(0)
	v_and_b32_e32 v20, 0xffff, v5
	v_mov_b32_e32 v4, v20
	v_mov_b32_e32 v5, v21
	s_or_b64 exec, exec, s[6:7]
	s_and_saveexec_b64 s[6:7], s[0:1]
	s_cbranch_execz .LBB12_10
.LBB12_75:
	global_load_ushort v15, v[2:3], off offset:2
	s_mov_b32 s8, 0x5040100
	s_waitcnt vmcnt(0)
	v_perm_b32 v4, v15, v4, s8
	s_or_b64 exec, exec, s[6:7]
	s_and_saveexec_b64 s[6:7], s[2:3]
	s_cbranch_execz .LBB12_11
.LBB12_76:
	global_load_ushort v15, v[2:3], off offset:4
	s_mov_b32 s8, 0xffff
	s_waitcnt vmcnt(0)
	v_bfi_b32 v5, s8, v15, v5
	s_or_b64 exec, exec, s[6:7]
	s_and_saveexec_b64 s[6:7], s[4:5]
	s_cbranch_execnz .LBB12_12
	s_branch .LBB12_13
.LBB12_77:
	v_cndmask_b32_e64 v5, v5, v9, s[6:7]
	v_cndmask_b32_e64 v4, v4, v8, s[6:7]
	global_store_dwordx2 v[0:1], v[4:5], off
	s_or_b64 exec, exec, s[14:15]
	s_and_saveexec_b64 s[6:7], s[0:1]
	s_cbranch_execz .LBB12_67
.LBB12_78:
	v_cndmask_b32_e64 v5, v7, v11, s[8:9]
	v_cndmask_b32_e64 v4, v6, v10, s[8:9]
	global_store_dwordx2 v[0:1], v[4:5], off offset:8
	s_or_b64 exec, exec, s[6:7]
	s_and_saveexec_b64 s[6:7], s[2:3]
	s_cbranch_execz .LBB12_68
.LBB12_79:
	v_cndmask_b32_e64 v5, v13, v15, s[10:11]
	v_cndmask_b32_e64 v4, v12, v14, s[10:11]
	global_store_dwordx2 v[0:1], v[4:5], off offset:16
	s_or_b64 exec, exec, s[6:7]
	s_and_saveexec_b64 s[6:7], s[4:5]
	s_cbranch_execz .LBB12_69
.LBB12_80:
	v_cndmask_b32_e64 v5, v17, v19, s[12:13]
	v_cndmask_b32_e64 v4, v16, v18, s[12:13]
	global_store_dwordx2 v[0:1], v[4:5], off offset:24
	s_or_b64 exec, exec, s[6:7]
	s_and_saveexec_b64 s[6:7], vcc
	s_cbranch_execz .LBB12_70
.LBB12_81:
	s_waitcnt lgkmcnt(3)
	global_store_short v[2:3], v23, off
	s_or_b64 exec, exec, s[6:7]
	s_and_saveexec_b64 s[6:7], s[0:1]
	s_cbranch_execz .LBB12_71
.LBB12_82:
	s_waitcnt lgkmcnt(2)
	global_store_short v[2:3], v22, off offset:2
	s_or_b64 exec, exec, s[6:7]
	s_and_saveexec_b64 s[0:1], s[2:3]
	s_cbranch_execz .LBB12_72
.LBB12_83:
	s_waitcnt lgkmcnt(1)
	global_store_short v[2:3], v21, off offset:4
	s_or_b64 exec, exec, s[0:1]
	s_and_saveexec_b64 s[0:1], s[4:5]
	s_cbranch_execz .LBB12_73
.LBB12_84:
	s_waitcnt lgkmcnt(0)
	global_store_short v[2:3], v20, off offset:6
	s_endpgm
	.section	.rodata,"a",@progbits
	.p2align	6, 0x0
	.amdhsa_kernel _Z26sort_keys_values_segmentedILj256ELj8ELj4ELb1ExsN10test_utils4lessEEvPT3_PT4_PKjT5_
		.amdhsa_group_segment_fixed_size 8448
		.amdhsa_private_segment_fixed_size 0
		.amdhsa_kernarg_size 28
		.amdhsa_user_sgpr_count 6
		.amdhsa_user_sgpr_private_segment_buffer 1
		.amdhsa_user_sgpr_dispatch_ptr 0
		.amdhsa_user_sgpr_queue_ptr 0
		.amdhsa_user_sgpr_kernarg_segment_ptr 1
		.amdhsa_user_sgpr_dispatch_id 0
		.amdhsa_user_sgpr_flat_scratch_init 0
		.amdhsa_user_sgpr_private_segment_size 0
		.amdhsa_uses_dynamic_stack 0
		.amdhsa_system_sgpr_private_segment_wavefront_offset 0
		.amdhsa_system_sgpr_workgroup_id_x 1
		.amdhsa_system_sgpr_workgroup_id_y 0
		.amdhsa_system_sgpr_workgroup_id_z 0
		.amdhsa_system_sgpr_workgroup_info 0
		.amdhsa_system_vgpr_workitem_id 0
		.amdhsa_next_free_vgpr 37
		.amdhsa_next_free_sgpr 77
		.amdhsa_reserve_vcc 1
		.amdhsa_reserve_flat_scratch 0
		.amdhsa_float_round_mode_32 0
		.amdhsa_float_round_mode_16_64 0
		.amdhsa_float_denorm_mode_32 3
		.amdhsa_float_denorm_mode_16_64 3
		.amdhsa_dx10_clamp 1
		.amdhsa_ieee_mode 1
		.amdhsa_fp16_overflow 0
		.amdhsa_exception_fp_ieee_invalid_op 0
		.amdhsa_exception_fp_denorm_src 0
		.amdhsa_exception_fp_ieee_div_zero 0
		.amdhsa_exception_fp_ieee_overflow 0
		.amdhsa_exception_fp_ieee_underflow 0
		.amdhsa_exception_fp_ieee_inexact 0
		.amdhsa_exception_int_div_zero 0
	.end_amdhsa_kernel
	.section	.text._Z26sort_keys_values_segmentedILj256ELj8ELj4ELb1ExsN10test_utils4lessEEvPT3_PT4_PKjT5_,"axG",@progbits,_Z26sort_keys_values_segmentedILj256ELj8ELj4ELb1ExsN10test_utils4lessEEvPT3_PT4_PKjT5_,comdat
.Lfunc_end12:
	.size	_Z26sort_keys_values_segmentedILj256ELj8ELj4ELb1ExsN10test_utils4lessEEvPT3_PT4_PKjT5_, .Lfunc_end12-_Z26sort_keys_values_segmentedILj256ELj8ELj4ELb1ExsN10test_utils4lessEEvPT3_PT4_PKjT5_
                                        ; -- End function
	.set _Z26sort_keys_values_segmentedILj256ELj8ELj4ELb1ExsN10test_utils4lessEEvPT3_PT4_PKjT5_.num_vgpr, 37
	.set _Z26sort_keys_values_segmentedILj256ELj8ELj4ELb1ExsN10test_utils4lessEEvPT3_PT4_PKjT5_.num_agpr, 0
	.set _Z26sort_keys_values_segmentedILj256ELj8ELj4ELb1ExsN10test_utils4lessEEvPT3_PT4_PKjT5_.numbered_sgpr, 18
	.set _Z26sort_keys_values_segmentedILj256ELj8ELj4ELb1ExsN10test_utils4lessEEvPT3_PT4_PKjT5_.num_named_barrier, 0
	.set _Z26sort_keys_values_segmentedILj256ELj8ELj4ELb1ExsN10test_utils4lessEEvPT3_PT4_PKjT5_.private_seg_size, 0
	.set _Z26sort_keys_values_segmentedILj256ELj8ELj4ELb1ExsN10test_utils4lessEEvPT3_PT4_PKjT5_.uses_vcc, 1
	.set _Z26sort_keys_values_segmentedILj256ELj8ELj4ELb1ExsN10test_utils4lessEEvPT3_PT4_PKjT5_.uses_flat_scratch, 0
	.set _Z26sort_keys_values_segmentedILj256ELj8ELj4ELb1ExsN10test_utils4lessEEvPT3_PT4_PKjT5_.has_dyn_sized_stack, 0
	.set _Z26sort_keys_values_segmentedILj256ELj8ELj4ELb1ExsN10test_utils4lessEEvPT3_PT4_PKjT5_.has_recursion, 0
	.set _Z26sort_keys_values_segmentedILj256ELj8ELj4ELb1ExsN10test_utils4lessEEvPT3_PT4_PKjT5_.has_indirect_call, 0
	.section	.AMDGPU.csdata,"",@progbits
; Kernel info:
; codeLenInByte = 4016
; TotalNumSgprs: 22
; NumVgprs: 37
; ScratchSize: 0
; MemoryBound: 0
; FloatMode: 240
; IeeeMode: 1
; LDSByteSize: 8448 bytes/workgroup (compile time only)
; SGPRBlocks: 10
; VGPRBlocks: 9
; NumSGPRsForWavesPerEU: 81
; NumVGPRsForWavesPerEU: 37
; Occupancy: 6
; WaveLimiterHint : 0
; COMPUTE_PGM_RSRC2:SCRATCH_EN: 0
; COMPUTE_PGM_RSRC2:USER_SGPR: 6
; COMPUTE_PGM_RSRC2:TRAP_HANDLER: 0
; COMPUTE_PGM_RSRC2:TGID_X_EN: 1
; COMPUTE_PGM_RSRC2:TGID_Y_EN: 0
; COMPUTE_PGM_RSRC2:TGID_Z_EN: 0
; COMPUTE_PGM_RSRC2:TIDIG_COMP_CNT: 0
	.section	.text._Z26sort_keys_values_segmentedILj256ELj32ELj8ELb0EN10test_utils16custom_test_typeIfEEiNS0_4lessEEvPT3_PT4_PKjT5_,"axG",@progbits,_Z26sort_keys_values_segmentedILj256ELj32ELj8ELb0EN10test_utils16custom_test_typeIfEEiNS0_4lessEEvPT3_PT4_PKjT5_,comdat
	.protected	_Z26sort_keys_values_segmentedILj256ELj32ELj8ELb0EN10test_utils16custom_test_typeIfEEiNS0_4lessEEvPT3_PT4_PKjT5_ ; -- Begin function _Z26sort_keys_values_segmentedILj256ELj32ELj8ELb0EN10test_utils16custom_test_typeIfEEiNS0_4lessEEvPT3_PT4_PKjT5_
	.globl	_Z26sort_keys_values_segmentedILj256ELj32ELj8ELb0EN10test_utils16custom_test_typeIfEEiNS0_4lessEEvPT3_PT4_PKjT5_
	.p2align	8
	.type	_Z26sort_keys_values_segmentedILj256ELj32ELj8ELb0EN10test_utils16custom_test_typeIfEEiNS0_4lessEEvPT3_PT4_PKjT5_,@function
_Z26sort_keys_values_segmentedILj256ELj32ELj8ELb0EN10test_utils16custom_test_typeIfEEiNS0_4lessEEvPT3_PT4_PKjT5_: ; @_Z26sort_keys_values_segmentedILj256ELj32ELj8ELb0EN10test_utils16custom_test_typeIfEEiNS0_4lessEEvPT3_PT4_PKjT5_
; %bb.0:
	s_load_dwordx2 s[0:1], s[4:5], 0x10
	s_load_dwordx4 s[12:15], s[4:5], 0x0
	v_lshrrev_b32_e32 v30, 5, v0
	v_lshl_or_b32 v18, s6, 3, v30
	v_mov_b32_e32 v19, 0
	v_lshlrev_b64 v[0:1], 2, v[18:19]
	s_waitcnt lgkmcnt(0)
	v_mov_b32_e32 v2, s1
	v_add_co_u32_e32 v0, vcc, s0, v0
	v_addc_co_u32_e32 v1, vcc, v2, v1, vcc
	global_load_dword v44, v[0:1], off
	v_mbcnt_lo_u32_b32 v0, -1, 0
	v_mbcnt_hi_u32_b32 v0, -1, v0
	v_mov_b32_e32 v3, v19
	v_lshlrev_b32_e32 v2, 8, v18
	v_lshlrev_b32_e32 v46, 3, v0
	v_lshlrev_b64 v[0:1], 3, v[2:3]
	v_and_b32_e32 v45, 0xf8, v46
	v_mov_b32_e32 v4, s13
	v_add_co_u32_e32 v0, vcc, s12, v0
	v_lshlrev_b32_e32 v31, 3, v45
	v_addc_co_u32_e32 v1, vcc, v4, v1, vcc
	v_add_co_u32_e32 v0, vcc, v0, v31
	v_addc_co_u32_e32 v1, vcc, 0, v1, vcc
	v_mov_b32_e32 v9, 0
	v_mov_b32_e32 v8, 0
	s_waitcnt vmcnt(0)
	v_cmp_lt_u32_e32 vcc, v45, v44
	s_and_saveexec_b64 s[0:1], vcc
	s_cbranch_execz .LBB13_2
; %bb.1:
	global_load_dwordx2 v[8:9], v[0:1], off
.LBB13_2:
	s_or_b64 exec, exec, s[0:1]
	v_or_b32_e32 v16, 1, v45
	v_cmp_lt_u32_e64 s[0:1], v16, v44
	v_mov_b32_e32 v18, 0
	s_and_saveexec_b64 s[2:3], s[0:1]
	s_cbranch_execz .LBB13_4
; %bb.3:
	global_load_dwordx2 v[18:19], v[0:1], off offset:8
.LBB13_4:
	s_or_b64 exec, exec, s[2:3]
	v_or_b32_e32 v39, 2, v45
	v_cmp_lt_u32_e64 s[2:3], v39, v44
	v_mov_b32_e32 v23, 0
	v_mov_b32_e32 v21, 0
	v_mov_b32_e32 v20, 0
	s_and_saveexec_b64 s[4:5], s[2:3]
	s_cbranch_execz .LBB13_6
; %bb.5:
	global_load_dwordx2 v[20:21], v[0:1], off offset:16
.LBB13_6:
	s_or_b64 exec, exec, s[4:5]
	v_or_b32_e32 v36, 3, v45
	v_cmp_lt_u32_e64 s[4:5], v36, v44
	v_mov_b32_e32 v22, 0
	s_and_saveexec_b64 s[6:7], s[4:5]
	s_cbranch_execz .LBB13_8
; %bb.7:
	global_load_dwordx2 v[22:23], v[0:1], off offset:24
.LBB13_8:
	s_or_b64 exec, exec, s[6:7]
	v_or_b32_e32 v35, 4, v45
	v_cmp_lt_u32_e64 s[6:7], v35, v44
	v_mov_b32_e32 v15, 0
	v_mov_b32_e32 v29, 0
	v_mov_b32_e32 v28, 0
	s_and_saveexec_b64 s[8:9], s[6:7]
	s_cbranch_execz .LBB13_10
; %bb.9:
	global_load_dwordx2 v[28:29], v[0:1], off offset:32
.LBB13_10:
	;; [unrolled: 20-line block ×3, first 2 shown]
	s_or_b64 exec, exec, s[12:13]
	v_or_b32_e32 v32, 7, v45
	v_cmp_lt_u32_e64 s[12:13], v32, v44
	v_mov_b32_e32 v24, 0
	s_and_saveexec_b64 s[16:17], s[12:13]
	s_cbranch_execz .LBB13_16
; %bb.15:
	global_load_dwordx2 v[24:25], v[0:1], off offset:56
.LBB13_16:
	s_or_b64 exec, exec, s[16:17]
	v_lshlrev_b64 v[2:3], 2, v[2:3]
	v_mov_b32_e32 v4, s15
	v_add_co_u32_e64 v2, s[14:15], s14, v2
	v_addc_co_u32_e64 v3, s[14:15], v4, v3, s[14:15]
	v_lshlrev_b32_e32 v4, 2, v45
	v_add_co_u32_e64 v2, s[14:15], v2, v4
	v_addc_co_u32_e64 v3, s[14:15], 0, v3, s[14:15]
                                        ; implicit-def: $vgpr4
	s_and_saveexec_b64 s[14:15], vcc
	s_cbranch_execnz .LBB13_182
; %bb.17:
	s_or_b64 exec, exec, s[14:15]
	s_and_saveexec_b64 s[14:15], s[0:1]
	s_cbranch_execnz .LBB13_183
.LBB13_18:
	s_or_b64 exec, exec, s[14:15]
	s_and_saveexec_b64 s[14:15], s[2:3]
                                        ; implicit-def: $vgpr10_vgpr11
	s_cbranch_execnz .LBB13_184
.LBB13_19:
	s_or_b64 exec, exec, s[14:15]
	s_and_saveexec_b64 s[14:15], s[4:5]
	s_cbranch_execnz .LBB13_185
.LBB13_20:
	s_or_b64 exec, exec, s[14:15]
                                        ; implicit-def: $vgpr12
	s_and_saveexec_b64 s[14:15], s[6:7]
	s_cbranch_execnz .LBB13_186
.LBB13_21:
	s_or_b64 exec, exec, s[14:15]
	s_and_saveexec_b64 s[14:15], s[8:9]
	s_cbranch_execnz .LBB13_187
.LBB13_22:
	s_or_b64 exec, exec, s[14:15]
	s_and_saveexec_b64 s[14:15], s[10:11]
                                        ; implicit-def: $vgpr6_vgpr7
	s_cbranch_execnz .LBB13_188
.LBB13_23:
	s_or_b64 exec, exec, s[14:15]
	s_and_saveexec_b64 s[14:15], s[12:13]
	s_cbranch_execz .LBB13_25
.LBB13_24:
	global_load_dword v7, v[2:3], off offset:28
.LBB13_25:
	s_or_b64 exec, exec, s[14:15]
	s_getpc_b64 s[14:15]
	s_add_u32 s14, s14, _ZN9sort_lastIN10test_utils4lessENS0_16custom_test_typeIfEEE5valueE@rel32@lo+4
	s_addc_u32 s15, s15, _ZN9sort_lastIN10test_utils4lessENS0_16custom_test_typeIfEEE5valueE@rel32@hi+12
	s_load_dwordx2 s[16:17], s[14:15], 0x0
	v_cmp_lt_i32_e64 s[14:15], v16, v44
	s_waitcnt lgkmcnt(0)
	v_mov_b32_e32 v37, s16
	v_mov_b32_e32 v38, s17
	v_mov_b32_e32 v16, s16
	v_mov_b32_e32 v17, s17
	s_and_saveexec_b64 s[18:19], s[14:15]
	s_cbranch_execz .LBB13_31
; %bb.26:
	s_waitcnt vmcnt(0)
	v_cmp_nlt_f32_e64 s[14:15], s16, v18
	s_mov_b64 s[22:23], -1
	s_and_saveexec_b64 s[20:21], s[14:15]
	s_cbranch_execz .LBB13_30
; %bb.27:
	v_cmp_eq_f32_e64 s[14:15], s16, v18
	s_mov_b64 s[22:23], 0
	s_and_saveexec_b64 s[24:25], s[14:15]
; %bb.28:
	v_cmp_lt_f32_e64 s[14:15], s17, v19
	s_and_b64 s[22:23], s[14:15], exec
; %bb.29:
	s_or_b64 exec, exec, s[24:25]
	s_orn2_b64 s[22:23], s[22:23], exec
.LBB13_30:
	s_or_b64 exec, exec, s[20:21]
	v_mov_b32_e32 v16, s16
	v_cndmask_b32_e64 v37, v16, v18, s[22:23]
	v_mov_b32_e32 v16, s17
	v_cndmask_b32_e64 v38, v16, v19, s[22:23]
	v_mov_b32_e32 v16, v18
	v_mov_b32_e32 v17, v19
.LBB13_31:
	s_or_b64 exec, exec, s[18:19]
	v_cmp_lt_i32_e64 s[14:15], v39, v44
	s_waitcnt vmcnt(0)
	v_mov_b32_e32 v18, v37
	v_mov_b32_e32 v19, v38
	s_and_saveexec_b64 s[16:17], s[14:15]
	s_cbranch_execz .LBB13_37
; %bb.32:
	v_cmp_nlt_f32_e64 s[14:15], v37, v20
	s_mov_b64 s[20:21], -1
	s_and_saveexec_b64 s[18:19], s[14:15]
	s_cbranch_execz .LBB13_36
; %bb.33:
	v_cmp_eq_f32_e64 s[14:15], v37, v20
	s_mov_b64 s[20:21], 0
	s_and_saveexec_b64 s[22:23], s[14:15]
; %bb.34:
	v_cmp_lt_f32_e64 s[14:15], v38, v21
	s_and_b64 s[20:21], s[14:15], exec
; %bb.35:
	s_or_b64 exec, exec, s[22:23]
	s_orn2_b64 s[20:21], s[20:21], exec
.LBB13_36:
	s_or_b64 exec, exec, s[18:19]
	v_cndmask_b32_e64 v37, v37, v20, s[20:21]
	v_cndmask_b32_e64 v38, v38, v21, s[20:21]
	v_mov_b32_e32 v18, v20
	v_mov_b32_e32 v19, v21
.LBB13_37:
	s_or_b64 exec, exec, s[16:17]
	v_cmp_lt_i32_e64 s[14:15], v36, v44
	v_mov_b32_e32 v20, v37
	v_mov_b32_e32 v21, v38
	s_and_saveexec_b64 s[16:17], s[14:15]
	s_cbranch_execz .LBB13_43
; %bb.38:
	v_cmp_nlt_f32_e64 s[14:15], v37, v22
	s_mov_b64 s[20:21], -1
	s_and_saveexec_b64 s[18:19], s[14:15]
	s_cbranch_execz .LBB13_42
; %bb.39:
	v_cmp_eq_f32_e64 s[14:15], v37, v22
	s_mov_b64 s[20:21], 0
	s_and_saveexec_b64 s[22:23], s[14:15]
; %bb.40:
	v_cmp_lt_f32_e64 s[14:15], v38, v23
	s_and_b64 s[20:21], s[14:15], exec
; %bb.41:
	s_or_b64 exec, exec, s[22:23]
	s_orn2_b64 s[20:21], s[20:21], exec
.LBB13_42:
	s_or_b64 exec, exec, s[18:19]
	v_cndmask_b32_e64 v37, v37, v22, s[20:21]
	v_cndmask_b32_e64 v38, v38, v23, s[20:21]
	v_mov_b32_e32 v20, v22
	v_mov_b32_e32 v21, v23
.LBB13_43:
	s_or_b64 exec, exec, s[16:17]
	v_cmp_lt_i32_e64 s[14:15], v35, v44
	v_mov_b32_e32 v22, v37
	v_mov_b32_e32 v23, v38
	s_and_saveexec_b64 s[16:17], s[14:15]
	s_cbranch_execz .LBB13_49
; %bb.44:
	v_cmp_nlt_f32_e64 s[14:15], v37, v28
	s_mov_b64 s[20:21], -1
	s_and_saveexec_b64 s[18:19], s[14:15]
	s_cbranch_execz .LBB13_48
; %bb.45:
	v_cmp_eq_f32_e64 s[14:15], v37, v28
	s_mov_b64 s[20:21], 0
	s_and_saveexec_b64 s[22:23], s[14:15]
; %bb.46:
	v_cmp_lt_f32_e64 s[14:15], v38, v29
	s_and_b64 s[20:21], s[14:15], exec
; %bb.47:
	s_or_b64 exec, exec, s[22:23]
	s_orn2_b64 s[20:21], s[20:21], exec
.LBB13_48:
	s_or_b64 exec, exec, s[18:19]
	v_cndmask_b32_e64 v37, v37, v28, s[20:21]
	v_cndmask_b32_e64 v38, v38, v29, s[20:21]
	v_mov_b32_e32 v22, v28
	v_mov_b32_e32 v23, v29
.LBB13_49:
	s_or_b64 exec, exec, s[16:17]
	v_cmp_lt_i32_e64 s[14:15], v34, v44
	v_mov_b32_e32 v28, v37
	v_mov_b32_e32 v29, v38
	s_and_saveexec_b64 s[16:17], s[14:15]
	s_cbranch_execz .LBB13_55
; %bb.50:
	v_cmp_nlt_f32_e64 s[14:15], v37, v14
	s_mov_b64 s[20:21], -1
	s_and_saveexec_b64 s[18:19], s[14:15]
	s_cbranch_execz .LBB13_54
; %bb.51:
	v_cmp_eq_f32_e64 s[14:15], v37, v14
	s_mov_b64 s[20:21], 0
	s_and_saveexec_b64 s[22:23], s[14:15]
; %bb.52:
	v_cmp_lt_f32_e64 s[14:15], v38, v15
	s_and_b64 s[20:21], s[14:15], exec
; %bb.53:
	s_or_b64 exec, exec, s[22:23]
	s_orn2_b64 s[20:21], s[20:21], exec
.LBB13_54:
	s_or_b64 exec, exec, s[18:19]
	v_cndmask_b32_e64 v37, v37, v14, s[20:21]
	v_cndmask_b32_e64 v38, v38, v15, s[20:21]
	v_mov_b32_e32 v28, v14
	v_mov_b32_e32 v29, v15
.LBB13_55:
	s_or_b64 exec, exec, s[16:17]
	v_cmp_lt_i32_e64 s[14:15], v33, v44
	v_mov_b32_e32 v14, v37
	v_mov_b32_e32 v15, v38
	s_and_saveexec_b64 s[16:17], s[14:15]
	s_cbranch_execz .LBB13_61
; %bb.56:
	v_cmp_nlt_f32_e64 s[14:15], v37, v26
	s_mov_b64 s[20:21], -1
	s_and_saveexec_b64 s[18:19], s[14:15]
	s_cbranch_execz .LBB13_60
; %bb.57:
	v_cmp_eq_f32_e64 s[14:15], v37, v26
	s_mov_b64 s[20:21], 0
	s_and_saveexec_b64 s[22:23], s[14:15]
; %bb.58:
	v_cmp_lt_f32_e64 s[14:15], v38, v27
	s_and_b64 s[20:21], s[14:15], exec
; %bb.59:
	s_or_b64 exec, exec, s[22:23]
	s_orn2_b64 s[20:21], s[20:21], exec
.LBB13_60:
	s_or_b64 exec, exec, s[18:19]
	v_cndmask_b32_e64 v37, v37, v26, s[20:21]
	v_cndmask_b32_e64 v38, v38, v27, s[20:21]
	v_mov_b32_e32 v14, v26
	v_mov_b32_e32 v15, v27
.LBB13_61:
	s_or_b64 exec, exec, s[16:17]
	v_cmp_lt_i32_e64 s[14:15], v32, v44
	v_cndmask_b32_e64 v25, v38, v25, s[14:15]
	v_cndmask_b32_e64 v24, v37, v24, s[14:15]
	v_cmp_lt_i32_e64 s[14:15], v45, v44
	s_and_saveexec_b64 s[18:19], s[14:15]
	s_cbranch_execz .LBB13_175
; %bb.62:
	v_cmp_lt_f32_e64 s[20:21], v16, v8
	v_cmp_nlt_f32_e64 s[14:15], v16, v8
	s_and_saveexec_b64 s[22:23], s[14:15]
; %bb.63:
	v_cmp_eq_f32_e64 s[14:15], v16, v8
	v_cmp_lt_f32_e64 s[16:17], v17, v9
	s_and_b64 s[14:15], s[14:15], s[16:17]
	s_andn2_b64 s[16:17], s[20:21], exec
	s_and_b64 s[14:15], s[14:15], exec
	s_or_b64 s[20:21], s[16:17], s[14:15]
; %bb.64:
	s_or_b64 exec, exec, s[22:23]
	v_mov_b32_e32 v26, v17
	v_mov_b32_e32 v27, v16
	v_mov_b32_e32 v34, v5
	s_and_saveexec_b64 s[14:15], s[20:21]
; %bb.65:
	v_mov_b32_e32 v26, v9
	v_mov_b32_e32 v27, v8
	v_mov_b32_e32 v9, v17
	v_mov_b32_e32 v8, v16
	v_mov_b32_e32 v34, v4
	v_mov_b32_e32 v4, v5
; %bb.66:
	s_or_b64 exec, exec, s[14:15]
	v_cmp_lt_f32_e64 s[20:21], v20, v18
	v_cmp_nlt_f32_e64 s[14:15], v20, v18
	s_and_saveexec_b64 s[22:23], s[14:15]
; %bb.67:
	v_cmp_eq_f32_e64 s[14:15], v20, v18
	v_cmp_lt_f32_e64 s[16:17], v21, v19
	s_and_b64 s[14:15], s[14:15], s[16:17]
	s_andn2_b64 s[16:17], s[20:21], exec
	s_and_b64 s[14:15], s[14:15], exec
	s_or_b64 s[20:21], s[16:17], s[14:15]
; %bb.68:
	s_or_b64 exec, exec, s[22:23]
	v_mov_b32_e32 v5, v21
	v_mov_b32_e32 v32, v20
	v_mov_b32_e32 v36, v11
	s_and_saveexec_b64 s[14:15], s[20:21]
; %bb.69:
	v_mov_b32_e32 v5, v19
	v_mov_b32_e32 v32, v18
	v_mov_b32_e32 v19, v21
	v_mov_b32_e32 v18, v20
	v_mov_b32_e32 v36, v10
	v_mov_b32_e32 v10, v11
; %bb.70:
	s_or_b64 exec, exec, s[14:15]
	v_cmp_lt_f32_e64 s[20:21], v28, v22
	v_cmp_nlt_f32_e64 s[14:15], v28, v22
	s_and_saveexec_b64 s[22:23], s[14:15]
; %bb.71:
	v_cmp_eq_f32_e64 s[14:15], v28, v22
	v_cmp_lt_f32_e64 s[16:17], v29, v23
	s_and_b64 s[14:15], s[14:15], s[16:17]
	s_andn2_b64 s[16:17], s[20:21], exec
	s_and_b64 s[14:15], s[14:15], exec
	s_or_b64 s[20:21], s[16:17], s[14:15]
; %bb.72:
	s_or_b64 exec, exec, s[22:23]
	v_mov_b32_e32 v17, v29
	v_mov_b32_e32 v33, v28
	v_mov_b32_e32 v37, v13
	s_and_saveexec_b64 s[14:15], s[20:21]
; %bb.73:
	v_mov_b32_e32 v17, v23
	v_mov_b32_e32 v33, v22
	v_mov_b32_e32 v23, v29
	v_mov_b32_e32 v22, v28
	v_mov_b32_e32 v37, v12
	v_mov_b32_e32 v12, v13
; %bb.74:
	s_or_b64 exec, exec, s[14:15]
	v_cmp_lt_f32_e64 s[20:21], v24, v14
	v_cmp_nlt_f32_e64 s[14:15], v24, v14
	s_and_saveexec_b64 s[22:23], s[14:15]
; %bb.75:
	v_cmp_eq_f32_e64 s[14:15], v24, v14
	v_cmp_lt_f32_e64 s[16:17], v25, v15
	s_and_b64 s[14:15], s[14:15], s[16:17]
	s_andn2_b64 s[16:17], s[20:21], exec
	s_and_b64 s[14:15], s[14:15], exec
	s_or_b64 s[20:21], s[16:17], s[14:15]
; %bb.76:
	s_or_b64 exec, exec, s[22:23]
	v_mov_b32_e32 v11, v25
	v_mov_b32_e32 v16, v24
	v_mov_b32_e32 v35, v7
	s_and_saveexec_b64 s[14:15], s[20:21]
; %bb.77:
	v_mov_b32_e32 v11, v15
	v_mov_b32_e32 v16, v14
	v_mov_b32_e32 v15, v25
	v_mov_b32_e32 v14, v24
	v_mov_b32_e32 v35, v6
	v_mov_b32_e32 v6, v7
; %bb.78:
	s_or_b64 exec, exec, s[14:15]
	v_cmp_nlt_f32_e64 s[14:15], v18, v27
	s_mov_b64 s[16:17], -1
	s_and_saveexec_b64 s[20:21], s[14:15]
	s_xor_b64 s[20:21], exec, s[20:21]
; %bb.79:
	v_cmp_eq_f32_e64 s[14:15], v18, v27
	v_cmp_lt_f32_e64 s[16:17], v19, v26
	s_and_b64 s[14:15], s[14:15], s[16:17]
	s_orn2_b64 s[16:17], s[14:15], exec
; %bb.80:
	s_or_b64 exec, exec, s[20:21]
	v_mov_b32_e32 v7, v19
	v_mov_b32_e32 v20, v18
	v_mov_b32_e32 v24, v10
	s_and_saveexec_b64 s[14:15], s[16:17]
; %bb.81:
	v_mov_b32_e32 v7, v26
	v_mov_b32_e32 v20, v27
	v_mov_b32_e32 v26, v19
	v_mov_b32_e32 v27, v18
	v_mov_b32_e32 v24, v34
	v_mov_b32_e32 v34, v10
; %bb.82:
	s_or_b64 exec, exec, s[14:15]
	v_cmp_lt_f32_e64 s[20:21], v22, v32
	v_cmp_nlt_f32_e64 s[14:15], v22, v32
	s_and_saveexec_b64 s[22:23], s[14:15]
; %bb.83:
	v_cmp_eq_f32_e64 s[14:15], v22, v32
	v_cmp_lt_f32_e64 s[16:17], v23, v5
	s_and_b64 s[14:15], s[14:15], s[16:17]
	s_andn2_b64 s[16:17], s[20:21], exec
	s_and_b64 s[14:15], s[14:15], exec
	s_or_b64 s[20:21], s[16:17], s[14:15]
; %bb.84:
	s_or_b64 exec, exec, s[22:23]
	v_mov_b32_e32 v10, v23
	v_mov_b32_e32 v18, v22
	v_mov_b32_e32 v25, v12
	s_and_saveexec_b64 s[14:15], s[20:21]
; %bb.85:
	v_mov_b32_e32 v10, v5
	v_mov_b32_e32 v18, v32
	v_mov_b32_e32 v5, v23
	v_mov_b32_e32 v32, v22
	v_mov_b32_e32 v25, v36
	v_mov_b32_e32 v36, v12
; %bb.86:
	s_or_b64 exec, exec, s[14:15]
	v_cmp_lt_f32_e64 s[20:21], v14, v33
	v_cmp_nlt_f32_e64 s[14:15], v14, v33
	s_and_saveexec_b64 s[22:23], s[14:15]
; %bb.87:
	v_cmp_eq_f32_e64 s[14:15], v14, v33
	v_cmp_lt_f32_e64 s[16:17], v15, v17
	s_and_b64 s[14:15], s[14:15], s[16:17]
	s_andn2_b64 s[16:17], s[20:21], exec
	s_and_b64 s[14:15], s[14:15], exec
	s_or_b64 s[20:21], s[16:17], s[14:15]
	;; [unrolled: 25-line block ×23, first 2 shown]
; %bb.172:
	s_or_b64 exec, exec, s[22:23]
	v_mov_b32_e32 v13, v36
	v_mov_b32_e32 v28, v35
	v_mov_b32_e32 v29, v27
	s_and_saveexec_b64 s[14:15], s[20:21]
; %bb.173:
	v_mov_b32_e32 v13, v6
	v_mov_b32_e32 v6, v36
	;; [unrolled: 1-line block ×6, first 2 shown]
; %bb.174:
	s_or_b64 exec, exec, s[14:15]
.LBB13_175:
	s_or_b64 exec, exec, s[18:19]
	s_movk_i32 s14, 0x808
	v_mad_u32_u24 v48, v30, s14, v31
	; wave barrier
	ds_write2_b64 v48, v[8:9], v[16:17] offset1:1
	ds_write2_b64 v48, v[18:19], v[20:21] offset0:2 offset1:3
	ds_write2_b64 v48, v[22:23], v[28:29] offset0:4 offset1:5
	;; [unrolled: 1-line block ×3, first 2 shown]
	v_and_b32_e32 v9, 0xf0, v46
	v_min_i32_e32 v16, v44, v9
	v_add_u32_e32 v9, 8, v16
	v_min_i32_e32 v49, v44, v9
	v_add_u32_e32 v9, 8, v49
	v_and_b32_e32 v8, 8, v46
	v_min_i32_e32 v50, v44, v9
	v_min_i32_e32 v8, v44, v8
	v_sub_u32_e32 v15, v50, v49
	v_lshlrev_b32_e32 v14, 3, v16
	v_sub_u32_e32 v9, v49, v16
	v_mad_u32_u24 v14, v30, s14, v14
	v_sub_u32_e32 v17, v8, v15
	v_cmp_ge_i32_e64 s[14:15], v8, v15
	v_cndmask_b32_e64 v17, 0, v17, s[14:15]
	v_min_i32_e32 v9, v8, v9
	v_mul_u32_u24_e32 v47, 0x808, v30
	v_cmp_lt_i32_e64 s[14:15], v17, v9
	; wave barrier
	s_and_saveexec_b64 s[16:17], s[14:15]
	s_cbranch_execz .LBB13_190
; %bb.176:
	v_lshlrev_b32_e32 v15, 3, v49
	v_lshlrev_b32_e32 v18, 3, v8
	v_add3_u32 v15, v47, v15, v18
	s_mov_b64 s[18:19], 0
                                        ; implicit-def: $sgpr20_sgpr21
	s_branch .LBB13_179
.LBB13_177:                             ;   in Loop: Header=BB13_179 Depth=1
	s_or_b64 exec, exec, s[26:27]
	s_andn2_b64 s[14:15], s[20:21], exec
	s_and_b64 s[20:21], s[24:25], exec
	s_or_b64 s[20:21], s[14:15], s[20:21]
.LBB13_178:                             ;   in Loop: Header=BB13_179 Depth=1
	s_or_b64 exec, exec, s[22:23]
	v_add_u32_e32 v19, 1, v18
	v_cndmask_b32_e64 v9, v9, v18, s[20:21]
	v_cndmask_b32_e64 v17, v19, v17, s[20:21]
	v_cmp_ge_i32_e64 s[14:15], v17, v9
	s_or_b64 s[18:19], s[14:15], s[18:19]
	s_andn2_b64 exec, exec, s[18:19]
	s_cbranch_execz .LBB13_189
.LBB13_179:                             ; =>This Inner Loop Header: Depth=1
	v_sub_u32_e32 v18, v9, v17
	v_lshrrev_b32_e32 v18, 1, v18
	v_add_u32_e32 v18, v18, v17
	v_lshl_add_u32 v19, v18, 3, v14
	v_not_b32_e32 v20, v18
	v_lshl_add_u32 v20, v20, 3, v15
	ds_read_b32 v21, v19
	ds_read_b32 v22, v20
	s_or_b64 s[20:21], s[20:21], exec
	s_waitcnt lgkmcnt(0)
	v_cmp_nlt_f32_e64 s[14:15], v22, v21
	s_and_saveexec_b64 s[22:23], s[14:15]
	s_cbranch_execz .LBB13_178
; %bb.180:                              ;   in Loop: Header=BB13_179 Depth=1
	v_cmp_eq_f32_e64 s[14:15], v22, v21
	s_mov_b64 s[24:25], 0
	s_and_saveexec_b64 s[26:27], s[14:15]
	s_cbranch_execz .LBB13_177
; %bb.181:                              ;   in Loop: Header=BB13_179 Depth=1
	ds_read_b32 v20, v20 offset:4
	ds_read_b32 v19, v19 offset:4
	s_waitcnt lgkmcnt(0)
	v_cmp_lt_f32_e64 s[14:15], v20, v19
	s_and_b64 s[24:25], s[14:15], exec
	s_branch .LBB13_177
.LBB13_182:
	global_load_dword v4, v[2:3], off
	s_or_b64 exec, exec, s[14:15]
	s_and_saveexec_b64 s[14:15], s[0:1]
	s_cbranch_execz .LBB13_18
.LBB13_183:
	global_load_dword v5, v[2:3], off offset:4
	s_or_b64 exec, exec, s[14:15]
	s_and_saveexec_b64 s[14:15], s[2:3]
                                        ; implicit-def: $vgpr10_vgpr11
	s_cbranch_execz .LBB13_19
.LBB13_184:
	global_load_dword v10, v[2:3], off offset:8
	s_or_b64 exec, exec, s[14:15]
	s_and_saveexec_b64 s[14:15], s[4:5]
	s_cbranch_execz .LBB13_20
.LBB13_185:
	global_load_dword v11, v[2:3], off offset:12
	s_or_b64 exec, exec, s[14:15]
                                        ; implicit-def: $vgpr12
	s_and_saveexec_b64 s[14:15], s[6:7]
	s_cbranch_execz .LBB13_21
.LBB13_186:
	global_load_dword v12, v[2:3], off offset:16
	s_or_b64 exec, exec, s[14:15]
	s_and_saveexec_b64 s[14:15], s[8:9]
	s_cbranch_execz .LBB13_22
.LBB13_187:
	global_load_dword v13, v[2:3], off offset:20
	s_or_b64 exec, exec, s[14:15]
	s_and_saveexec_b64 s[14:15], s[10:11]
                                        ; implicit-def: $vgpr6_vgpr7
	s_cbranch_execz .LBB13_23
.LBB13_188:
	global_load_dword v6, v[2:3], off offset:24
	s_or_b64 exec, exec, s[14:15]
	s_and_saveexec_b64 s[14:15], s[12:13]
	s_cbranch_execnz .LBB13_24
	s_branch .LBB13_25
.LBB13_189:
	s_or_b64 exec, exec, s[18:19]
.LBB13_190:
	s_or_b64 exec, exec, s[16:17]
	v_add_u32_e32 v8, v49, v8
	v_sub_u32_e32 v51, v8, v17
	v_lshl_add_u32 v20, v51, 3, v47
	ds_read_b64 v[8:9], v20
	v_lshl_add_u32 v19, v17, 3, v14
	ds_read_b64 v[14:15], v19
	v_add_u32_e32 v52, v17, v16
	v_cmp_gt_i32_e64 s[14:15], v50, v51
	s_waitcnt lgkmcnt(1)
	v_mov_b32_e32 v16, v8
	v_mov_b32_e32 v17, v9
	s_mov_b64 s[18:19], 0
	s_and_saveexec_b64 s[20:21], s[14:15]
	s_cbranch_execz .LBB13_196
; %bb.191:
	v_cmp_gt_i32_e64 s[14:15], v49, v52
	s_waitcnt lgkmcnt(0)
	v_cmp_nlt_f32_e64 s[16:17], v8, v14
	s_and_b64 s[18:19], s[14:15], s[16:17]
	s_mov_b64 s[14:15], -1
	s_and_saveexec_b64 s[16:17], s[18:19]
	s_cbranch_execz .LBB13_195
; %bb.192:
	v_cmp_eq_f32_e64 s[14:15], v8, v14
	s_mov_b64 s[18:19], 0
	s_and_saveexec_b64 s[22:23], s[14:15]
; %bb.193:
	v_cmp_lt_f32_e64 s[14:15], v9, v15
	s_and_b64 s[18:19], s[14:15], exec
; %bb.194:
	s_or_b64 exec, exec, s[22:23]
	s_orn2_b64 s[14:15], s[18:19], exec
.LBB13_195:
	s_or_b64 exec, exec, s[16:17]
	s_and_b64 s[18:19], s[14:15], exec
.LBB13_196:
	s_or_b64 exec, exec, s[20:21]
	s_xor_b64 s[14:15], s[18:19], -1
                                        ; implicit-def: $vgpr18
	s_and_saveexec_b64 s[16:17], s[14:15]
	s_xor_b64 s[14:15], exec, s[16:17]
; %bb.197:
	ds_read_b64 v[18:19], v19 offset:8
                                        ; implicit-def: $vgpr20
; %bb.198:
	s_andn2_saveexec_b64 s[14:15], s[14:15]
	s_cbranch_execz .LBB13_200
; %bb.199:
	ds_read_b64 v[16:17], v20 offset:8
	s_waitcnt lgkmcnt(1)
	v_mov_b32_e32 v19, v15
	v_mov_b32_e32 v18, v14
.LBB13_200:
	s_or_b64 exec, exec, s[14:15]
	v_add_u32_e32 v20, 1, v51
	v_add_u32_e32 v21, 1, v52
	v_cndmask_b32_e64 v53, v51, v20, s[18:19]
	v_cndmask_b32_e64 v54, v21, v52, s[18:19]
	v_cmp_lt_i32_e64 s[14:15], v53, v50
	s_mov_b64 s[20:21], 0
	s_and_saveexec_b64 s[22:23], s[14:15]
	s_cbranch_execz .LBB13_206
; %bb.201:
	v_cmp_lt_i32_e64 s[14:15], v54, v49
	s_waitcnt lgkmcnt(0)
	v_cmp_nlt_f32_e64 s[16:17], v16, v18
	s_and_b64 s[20:21], s[14:15], s[16:17]
	s_mov_b64 s[14:15], -1
	s_and_saveexec_b64 s[16:17], s[20:21]
	s_cbranch_execz .LBB13_205
; %bb.202:
	v_cmp_eq_f32_e64 s[14:15], v16, v18
	s_mov_b64 s[20:21], 0
	s_and_saveexec_b64 s[24:25], s[14:15]
; %bb.203:
	v_cmp_lt_f32_e64 s[14:15], v17, v19
	s_and_b64 s[20:21], s[14:15], exec
; %bb.204:
	s_or_b64 exec, exec, s[24:25]
	s_orn2_b64 s[14:15], s[20:21], exec
.LBB13_205:
	s_or_b64 exec, exec, s[16:17]
	s_and_b64 s[20:21], s[14:15], exec
.LBB13_206:
	s_or_b64 exec, exec, s[22:23]
	s_xor_b64 s[14:15], s[20:21], -1
                                        ; implicit-def: $vgpr20
	s_and_saveexec_b64 s[16:17], s[14:15]
	s_xor_b64 s[14:15], exec, s[16:17]
; %bb.207:
	v_lshl_add_u32 v20, v54, 3, v47
	ds_read_b64 v[20:21], v20 offset:8
; %bb.208:
	s_or_saveexec_b64 s[14:15], s[14:15]
	s_waitcnt lgkmcnt(0)
	v_mov_b32_e32 v22, v16
	v_mov_b32_e32 v23, v17
	s_xor_b64 exec, exec, s[14:15]
; %bb.209:
	v_lshl_add_u32 v20, v53, 3, v47
	ds_read_b64 v[22:23], v20 offset:8
	v_mov_b32_e32 v21, v19
	v_mov_b32_e32 v20, v18
; %bb.210:
	s_or_b64 exec, exec, s[14:15]
	v_add_u32_e32 v24, 1, v53
	v_add_u32_e32 v25, 1, v54
	v_cndmask_b32_e64 v55, v53, v24, s[20:21]
	v_cndmask_b32_e64 v56, v25, v54, s[20:21]
	v_cmp_lt_i32_e64 s[14:15], v55, v50
	s_mov_b64 s[22:23], 0
	s_and_saveexec_b64 s[24:25], s[14:15]
	s_cbranch_execz .LBB13_216
; %bb.211:
	v_cmp_lt_i32_e64 s[14:15], v56, v49
	s_waitcnt lgkmcnt(0)
	v_cmp_nlt_f32_e64 s[16:17], v22, v20
	s_and_b64 s[22:23], s[14:15], s[16:17]
	s_mov_b64 s[14:15], -1
	s_and_saveexec_b64 s[16:17], s[22:23]
	s_cbranch_execz .LBB13_215
; %bb.212:
	v_cmp_eq_f32_e64 s[14:15], v22, v20
	s_mov_b64 s[22:23], 0
	s_and_saveexec_b64 s[26:27], s[14:15]
; %bb.213:
	v_cmp_lt_f32_e64 s[14:15], v23, v21
	s_and_b64 s[22:23], s[14:15], exec
; %bb.214:
	s_or_b64 exec, exec, s[26:27]
	s_orn2_b64 s[14:15], s[22:23], exec
.LBB13_215:
	s_or_b64 exec, exec, s[16:17]
	s_and_b64 s[22:23], s[14:15], exec
.LBB13_216:
	s_or_b64 exec, exec, s[24:25]
	s_xor_b64 s[14:15], s[22:23], -1
                                        ; implicit-def: $vgpr24
	s_and_saveexec_b64 s[16:17], s[14:15]
	s_xor_b64 s[14:15], exec, s[16:17]
; %bb.217:
	v_lshl_add_u32 v24, v56, 3, v47
	ds_read_b64 v[24:25], v24 offset:8
; %bb.218:
	s_or_saveexec_b64 s[14:15], s[14:15]
	s_waitcnt lgkmcnt(0)
	v_mov_b32_e32 v26, v22
	v_mov_b32_e32 v27, v23
	s_xor_b64 exec, exec, s[14:15]
; %bb.219:
	v_lshl_add_u32 v24, v55, 3, v47
	ds_read_b64 v[26:27], v24 offset:8
	v_mov_b32_e32 v25, v21
	v_mov_b32_e32 v24, v20
; %bb.220:
	s_or_b64 exec, exec, s[14:15]
	v_add_u32_e32 v28, 1, v55
	v_add_u32_e32 v29, 1, v56
	v_cndmask_b32_e64 v57, v55, v28, s[22:23]
	v_cndmask_b32_e64 v58, v29, v56, s[22:23]
	v_cmp_lt_i32_e64 s[14:15], v57, v50
	s_mov_b64 s[24:25], 0
	s_and_saveexec_b64 s[26:27], s[14:15]
	s_cbranch_execz .LBB13_226
; %bb.221:
	v_cmp_lt_i32_e64 s[14:15], v58, v49
	s_waitcnt lgkmcnt(0)
	v_cmp_nlt_f32_e64 s[16:17], v26, v24
	s_and_b64 s[24:25], s[14:15], s[16:17]
	s_mov_b64 s[14:15], -1
	s_and_saveexec_b64 s[16:17], s[24:25]
	s_cbranch_execz .LBB13_225
; %bb.222:
	v_cmp_eq_f32_e64 s[14:15], v26, v24
	s_mov_b64 s[24:25], 0
	s_and_saveexec_b64 s[28:29], s[14:15]
; %bb.223:
	v_cmp_lt_f32_e64 s[14:15], v27, v25
	s_and_b64 s[24:25], s[14:15], exec
; %bb.224:
	s_or_b64 exec, exec, s[28:29]
	s_orn2_b64 s[14:15], s[24:25], exec
.LBB13_225:
	s_or_b64 exec, exec, s[16:17]
	s_and_b64 s[24:25], s[14:15], exec
.LBB13_226:
	s_or_b64 exec, exec, s[26:27]
	s_xor_b64 s[14:15], s[24:25], -1
                                        ; implicit-def: $vgpr28
	s_and_saveexec_b64 s[16:17], s[14:15]
	s_xor_b64 s[14:15], exec, s[16:17]
; %bb.227:
	v_lshl_add_u32 v28, v58, 3, v47
	ds_read_b64 v[28:29], v28 offset:8
; %bb.228:
	s_or_saveexec_b64 s[14:15], s[14:15]
	s_waitcnt lgkmcnt(0)
	v_mov_b32_e32 v30, v26
	v_mov_b32_e32 v31, v27
	s_xor_b64 exec, exec, s[14:15]
; %bb.229:
	v_lshl_add_u32 v28, v57, 3, v47
	ds_read_b64 v[30:31], v28 offset:8
	v_mov_b32_e32 v29, v25
	v_mov_b32_e32 v28, v24
; %bb.230:
	s_or_b64 exec, exec, s[14:15]
	v_add_u32_e32 v32, 1, v57
	v_add_u32_e32 v33, 1, v58
	v_cndmask_b32_e64 v59, v57, v32, s[24:25]
	v_cndmask_b32_e64 v60, v33, v58, s[24:25]
	v_cmp_lt_i32_e64 s[14:15], v59, v50
	s_mov_b64 s[26:27], 0
	s_and_saveexec_b64 s[28:29], s[14:15]
	s_cbranch_execz .LBB13_236
; %bb.231:
	v_cmp_lt_i32_e64 s[14:15], v60, v49
	s_waitcnt lgkmcnt(0)
	v_cmp_nlt_f32_e64 s[16:17], v30, v28
	s_and_b64 s[26:27], s[14:15], s[16:17]
	s_mov_b64 s[14:15], -1
	s_and_saveexec_b64 s[16:17], s[26:27]
	s_cbranch_execz .LBB13_235
; %bb.232:
	v_cmp_eq_f32_e64 s[14:15], v30, v28
	s_mov_b64 s[26:27], 0
	s_and_saveexec_b64 s[30:31], s[14:15]
; %bb.233:
	v_cmp_lt_f32_e64 s[14:15], v31, v29
	s_and_b64 s[26:27], s[14:15], exec
; %bb.234:
	s_or_b64 exec, exec, s[30:31]
	s_orn2_b64 s[14:15], s[26:27], exec
.LBB13_235:
	s_or_b64 exec, exec, s[16:17]
	s_and_b64 s[26:27], s[14:15], exec
.LBB13_236:
	s_or_b64 exec, exec, s[28:29]
	s_xor_b64 s[14:15], s[26:27], -1
                                        ; implicit-def: $vgpr32
	s_and_saveexec_b64 s[16:17], s[14:15]
	s_xor_b64 s[14:15], exec, s[16:17]
; %bb.237:
	v_lshl_add_u32 v32, v60, 3, v47
	ds_read_b64 v[32:33], v32 offset:8
; %bb.238:
	s_or_saveexec_b64 s[14:15], s[14:15]
	s_waitcnt lgkmcnt(0)
	v_mov_b32_e32 v34, v30
	v_mov_b32_e32 v35, v31
	s_xor_b64 exec, exec, s[14:15]
; %bb.239:
	v_lshl_add_u32 v32, v59, 3, v47
	ds_read_b64 v[34:35], v32 offset:8
	v_mov_b32_e32 v33, v29
	v_mov_b32_e32 v32, v28
; %bb.240:
	s_or_b64 exec, exec, s[14:15]
	v_add_u32_e32 v36, 1, v59
	v_add_u32_e32 v37, 1, v60
	v_cndmask_b32_e64 v61, v59, v36, s[26:27]
	v_cndmask_b32_e64 v62, v37, v60, s[26:27]
	v_cmp_lt_i32_e64 s[14:15], v61, v50
	s_mov_b64 s[28:29], 0
	s_and_saveexec_b64 s[30:31], s[14:15]
	s_cbranch_execz .LBB13_246
; %bb.241:
	v_cmp_lt_i32_e64 s[14:15], v62, v49
	s_waitcnt lgkmcnt(0)
	v_cmp_nlt_f32_e64 s[16:17], v34, v32
	s_and_b64 s[28:29], s[14:15], s[16:17]
	s_mov_b64 s[14:15], -1
	s_and_saveexec_b64 s[16:17], s[28:29]
	s_cbranch_execz .LBB13_245
; %bb.242:
	v_cmp_eq_f32_e64 s[14:15], v34, v32
	s_mov_b64 s[28:29], 0
	s_and_saveexec_b64 s[34:35], s[14:15]
; %bb.243:
	v_cmp_lt_f32_e64 s[14:15], v35, v33
	s_and_b64 s[28:29], s[14:15], exec
; %bb.244:
	s_or_b64 exec, exec, s[34:35]
	s_orn2_b64 s[14:15], s[28:29], exec
.LBB13_245:
	s_or_b64 exec, exec, s[16:17]
	s_and_b64 s[28:29], s[14:15], exec
.LBB13_246:
	s_or_b64 exec, exec, s[30:31]
	s_xor_b64 s[14:15], s[28:29], -1
                                        ; implicit-def: $vgpr36
	s_and_saveexec_b64 s[16:17], s[14:15]
	s_xor_b64 s[14:15], exec, s[16:17]
; %bb.247:
	v_lshl_add_u32 v36, v62, 3, v47
	ds_read_b64 v[36:37], v36 offset:8
; %bb.248:
	s_or_saveexec_b64 s[14:15], s[14:15]
	s_waitcnt lgkmcnt(0)
	v_mov_b32_e32 v38, v34
	v_mov_b32_e32 v39, v35
	s_xor_b64 exec, exec, s[14:15]
; %bb.249:
	v_lshl_add_u32 v36, v61, 3, v47
	ds_read_b64 v[38:39], v36 offset:8
	v_mov_b32_e32 v37, v33
	v_mov_b32_e32 v36, v32
; %bb.250:
	s_or_b64 exec, exec, s[14:15]
	v_add_u32_e32 v40, 1, v61
	v_add_u32_e32 v41, 1, v62
	v_cndmask_b32_e64 v63, v61, v40, s[28:29]
	v_cndmask_b32_e64 v64, v41, v62, s[28:29]
	v_cmp_lt_i32_e64 s[14:15], v63, v50
	s_mov_b64 s[30:31], 0
	s_and_saveexec_b64 s[34:35], s[14:15]
	s_cbranch_execz .LBB13_256
; %bb.251:
	v_cmp_lt_i32_e64 s[14:15], v64, v49
	s_waitcnt lgkmcnt(0)
	v_cmp_nlt_f32_e64 s[16:17], v38, v36
	s_and_b64 s[30:31], s[14:15], s[16:17]
	s_mov_b64 s[14:15], -1
	s_and_saveexec_b64 s[16:17], s[30:31]
	s_cbranch_execz .LBB13_255
; %bb.252:
	v_cmp_eq_f32_e64 s[14:15], v38, v36
	s_mov_b64 s[30:31], 0
	s_and_saveexec_b64 s[36:37], s[14:15]
; %bb.253:
	v_cmp_lt_f32_e64 s[14:15], v39, v37
	s_and_b64 s[30:31], s[14:15], exec
; %bb.254:
	s_or_b64 exec, exec, s[36:37]
	s_orn2_b64 s[14:15], s[30:31], exec
.LBB13_255:
	s_or_b64 exec, exec, s[16:17]
	s_and_b64 s[30:31], s[14:15], exec
.LBB13_256:
	s_or_b64 exec, exec, s[34:35]
	s_xor_b64 s[14:15], s[30:31], -1
                                        ; implicit-def: $vgpr40
	s_and_saveexec_b64 s[16:17], s[14:15]
	s_xor_b64 s[14:15], exec, s[16:17]
; %bb.257:
	v_lshl_add_u32 v40, v64, 3, v47
	ds_read_b64 v[40:41], v40 offset:8
; %bb.258:
	s_or_saveexec_b64 s[14:15], s[14:15]
	s_waitcnt lgkmcnt(0)
	v_mov_b32_e32 v42, v38
	v_mov_b32_e32 v43, v39
	s_xor_b64 exec, exec, s[14:15]
; %bb.259:
	v_lshl_add_u32 v40, v63, 3, v47
	ds_read_b64 v[42:43], v40 offset:8
	v_mov_b32_e32 v41, v37
	v_mov_b32_e32 v40, v36
; %bb.260:
	s_or_b64 exec, exec, s[14:15]
	v_add_u32_e32 v65, 1, v63
	v_add_u32_e32 v66, 1, v64
	v_cndmask_b32_e64 v65, v63, v65, s[30:31]
	v_cndmask_b32_e64 v66, v66, v64, s[30:31]
	v_cmp_lt_i32_e64 s[14:15], v65, v50
	s_mov_b64 s[16:17], 0
	s_and_saveexec_b64 s[34:35], s[14:15]
	s_cbranch_execz .LBB13_266
; %bb.261:
	v_cmp_lt_i32_e64 s[14:15], v66, v49
	s_waitcnt lgkmcnt(0)
	v_cmp_nlt_f32_e64 s[16:17], v42, v40
	s_and_b64 s[36:37], s[14:15], s[16:17]
	s_mov_b64 s[14:15], -1
	s_and_saveexec_b64 s[16:17], s[36:37]
	s_cbranch_execz .LBB13_265
; %bb.262:
	v_cmp_eq_f32_e64 s[14:15], v42, v40
	s_mov_b64 s[36:37], 0
	s_and_saveexec_b64 s[38:39], s[14:15]
; %bb.263:
	v_cmp_lt_f32_e64 s[14:15], v43, v41
	s_and_b64 s[36:37], s[14:15], exec
; %bb.264:
	s_or_b64 exec, exec, s[38:39]
	s_orn2_b64 s[14:15], s[36:37], exec
.LBB13_265:
	s_or_b64 exec, exec, s[16:17]
	s_and_b64 s[16:17], s[14:15], exec
.LBB13_266:
	s_or_b64 exec, exec, s[34:35]
	v_cndmask_b32_e64 v24, v24, v26, s[24:25]
	v_cndmask_b32_e64 v26, v58, v57, s[24:25]
	;; [unrolled: 1-line block ×10, first 2 shown]
	v_lshl_add_u32 v49, v45, 2, v47
	v_cndmask_b32_e64 v36, v36, v38, s[30:31]
	v_cndmask_b32_e64 v38, v64, v63, s[30:31]
	;; [unrolled: 1-line block ×6, first 2 shown]
	; wave barrier
	ds_write2_b64 v49, v[4:5], v[10:11] offset1:1
	ds_write2_b64 v49, v[12:13], v[6:7] offset0:2 offset1:3
	v_lshl_add_u32 v4, v8, 2, v47
	v_lshl_add_u32 v5, v23, 2, v47
	;; [unrolled: 1-line block ×5, first 2 shown]
	; wave barrier
	v_lshl_add_u32 v12, v30, 2, v47
	v_lshl_add_u32 v13, v34, 2, v47
	v_lshl_add_u32 v22, v38, 2, v47
	ds_read_b32 v6, v4
	ds_read_b32 v7, v5
	;; [unrolled: 1-line block ×8, first 2 shown]
	v_cndmask_b32_e64 v16, v18, v16, s[20:21]
	v_cndmask_b32_e64 v17, v19, v17, s[20:21]
	v_and_b32_e32 v13, 0xe0, v46
	v_cndmask_b32_e64 v37, v37, v39, s[30:31]
	v_cndmask_b32_e64 v33, v33, v35, s[28:29]
	;; [unrolled: 1-line block ×4, first 2 shown]
	s_waitcnt lgkmcnt(10)
	v_cndmask_b32_e64 v18, v40, v42, s[16:17]
	v_cndmask_b32_e64 v19, v41, v43, s[16:17]
	; wave barrier
	ds_write2_b64 v48, v[14:15], v[16:17] offset1:1
	ds_write2_b64 v48, v[20:21], v[24:25] offset0:2 offset1:3
	ds_write2_b64 v48, v[28:29], v[32:33] offset0:4 offset1:5
	;; [unrolled: 1-line block ×3, first 2 shown]
	v_min_i32_e32 v16, v44, v13
	v_add_u32_e32 v13, 16, v16
	v_min_i32_e32 v50, v44, v13
	v_add_u32_e32 v13, 16, v50
	v_and_b32_e32 v12, 24, v46
	v_min_i32_e32 v51, v44, v13
	v_min_i32_e32 v12, v44, v12
	v_sub_u32_e32 v15, v51, v50
	v_sub_u32_e32 v13, v50, v16
	;; [unrolled: 1-line block ×3, first 2 shown]
	v_cmp_ge_i32_e64 s[14:15], v12, v15
	v_cndmask_b32_e64 v17, 0, v17, s[14:15]
	v_min_i32_e32 v13, v12, v13
	v_lshl_add_u32 v14, v16, 3, v47
	v_cmp_lt_i32_e64 s[14:15], v17, v13
	; wave barrier
	s_and_saveexec_b64 s[16:17], s[14:15]
	s_cbranch_execz .LBB13_274
; %bb.267:
	v_lshlrev_b32_e32 v15, 3, v50
	v_lshlrev_b32_e32 v18, 3, v12
	v_add3_u32 v15, v47, v15, v18
	s_mov_b64 s[18:19], 0
                                        ; implicit-def: $sgpr20_sgpr21
	s_branch .LBB13_270
.LBB13_268:                             ;   in Loop: Header=BB13_270 Depth=1
	s_or_b64 exec, exec, s[26:27]
	s_andn2_b64 s[14:15], s[20:21], exec
	s_and_b64 s[20:21], s[24:25], exec
	s_or_b64 s[20:21], s[14:15], s[20:21]
.LBB13_269:                             ;   in Loop: Header=BB13_270 Depth=1
	s_or_b64 exec, exec, s[22:23]
	v_add_u32_e32 v19, 1, v18
	v_cndmask_b32_e64 v13, v13, v18, s[20:21]
	v_cndmask_b32_e64 v17, v19, v17, s[20:21]
	v_cmp_ge_i32_e64 s[14:15], v17, v13
	s_or_b64 s[18:19], s[14:15], s[18:19]
	s_andn2_b64 exec, exec, s[18:19]
	s_cbranch_execz .LBB13_273
.LBB13_270:                             ; =>This Inner Loop Header: Depth=1
	v_sub_u32_e32 v18, v13, v17
	v_lshrrev_b32_e32 v18, 1, v18
	v_add_u32_e32 v18, v18, v17
	v_lshl_add_u32 v19, v18, 3, v14
	v_not_b32_e32 v20, v18
	v_lshl_add_u32 v20, v20, 3, v15
	ds_read_b32 v21, v19
	ds_read_b32 v22, v20
	s_or_b64 s[20:21], s[20:21], exec
	s_waitcnt lgkmcnt(0)
	v_cmp_nlt_f32_e64 s[14:15], v22, v21
	s_and_saveexec_b64 s[22:23], s[14:15]
	s_cbranch_execz .LBB13_269
; %bb.271:                              ;   in Loop: Header=BB13_270 Depth=1
	v_cmp_eq_f32_e64 s[14:15], v22, v21
	s_mov_b64 s[24:25], 0
	s_and_saveexec_b64 s[26:27], s[14:15]
	s_cbranch_execz .LBB13_268
; %bb.272:                              ;   in Loop: Header=BB13_270 Depth=1
	ds_read_b32 v20, v20 offset:4
	ds_read_b32 v19, v19 offset:4
	s_waitcnt lgkmcnt(0)
	v_cmp_lt_f32_e64 s[14:15], v20, v19
	s_and_b64 s[24:25], s[14:15], exec
	s_branch .LBB13_268
.LBB13_273:
	s_or_b64 exec, exec, s[18:19]
.LBB13_274:
	s_or_b64 exec, exec, s[16:17]
	v_add_u32_e32 v12, v50, v12
	v_sub_u32_e32 v52, v12, v17
	v_lshl_add_u32 v20, v52, 3, v47
	ds_read_b64 v[12:13], v20
	v_lshl_add_u32 v19, v17, 3, v14
	ds_read_b64 v[14:15], v19
	v_add_u32_e32 v53, v17, v16
	v_cmp_gt_i32_e64 s[14:15], v51, v52
	s_waitcnt lgkmcnt(1)
	v_mov_b32_e32 v16, v12
	v_mov_b32_e32 v17, v13
	s_mov_b64 s[18:19], 0
	s_and_saveexec_b64 s[20:21], s[14:15]
	s_cbranch_execz .LBB13_280
; %bb.275:
	v_cmp_gt_i32_e64 s[14:15], v50, v53
	s_waitcnt lgkmcnt(0)
	v_cmp_nlt_f32_e64 s[16:17], v12, v14
	s_and_b64 s[18:19], s[14:15], s[16:17]
	s_mov_b64 s[14:15], -1
	s_and_saveexec_b64 s[16:17], s[18:19]
	s_cbranch_execz .LBB13_279
; %bb.276:
	v_cmp_eq_f32_e64 s[14:15], v12, v14
	s_mov_b64 s[18:19], 0
	s_and_saveexec_b64 s[22:23], s[14:15]
; %bb.277:
	v_cmp_lt_f32_e64 s[14:15], v13, v15
	s_and_b64 s[18:19], s[14:15], exec
; %bb.278:
	s_or_b64 exec, exec, s[22:23]
	s_orn2_b64 s[14:15], s[18:19], exec
.LBB13_279:
	s_or_b64 exec, exec, s[16:17]
	s_and_b64 s[18:19], s[14:15], exec
.LBB13_280:
	s_or_b64 exec, exec, s[20:21]
	s_xor_b64 s[14:15], s[18:19], -1
                                        ; implicit-def: $vgpr18
	s_and_saveexec_b64 s[16:17], s[14:15]
	s_xor_b64 s[14:15], exec, s[16:17]
; %bb.281:
	ds_read_b64 v[18:19], v19 offset:8
                                        ; implicit-def: $vgpr20
; %bb.282:
	s_andn2_saveexec_b64 s[14:15], s[14:15]
	s_cbranch_execz .LBB13_284
; %bb.283:
	ds_read_b64 v[16:17], v20 offset:8
	s_waitcnt lgkmcnt(1)
	v_mov_b32_e32 v19, v15
	v_mov_b32_e32 v18, v14
.LBB13_284:
	s_or_b64 exec, exec, s[14:15]
	v_add_u32_e32 v20, 1, v52
	v_add_u32_e32 v21, 1, v53
	v_cndmask_b32_e64 v54, v52, v20, s[18:19]
	v_cndmask_b32_e64 v55, v21, v53, s[18:19]
	v_cmp_lt_i32_e64 s[14:15], v54, v51
	s_mov_b64 s[20:21], 0
	s_and_saveexec_b64 s[22:23], s[14:15]
	s_cbranch_execz .LBB13_290
; %bb.285:
	v_cmp_lt_i32_e64 s[14:15], v55, v50
	s_waitcnt lgkmcnt(0)
	v_cmp_nlt_f32_e64 s[16:17], v16, v18
	s_and_b64 s[20:21], s[14:15], s[16:17]
	s_mov_b64 s[14:15], -1
	s_and_saveexec_b64 s[16:17], s[20:21]
	s_cbranch_execz .LBB13_289
; %bb.286:
	v_cmp_eq_f32_e64 s[14:15], v16, v18
	s_mov_b64 s[20:21], 0
	s_and_saveexec_b64 s[24:25], s[14:15]
; %bb.287:
	v_cmp_lt_f32_e64 s[14:15], v17, v19
	s_and_b64 s[20:21], s[14:15], exec
; %bb.288:
	s_or_b64 exec, exec, s[24:25]
	s_orn2_b64 s[14:15], s[20:21], exec
.LBB13_289:
	s_or_b64 exec, exec, s[16:17]
	s_and_b64 s[20:21], s[14:15], exec
.LBB13_290:
	s_or_b64 exec, exec, s[22:23]
	s_xor_b64 s[14:15], s[20:21], -1
                                        ; implicit-def: $vgpr20
	s_and_saveexec_b64 s[16:17], s[14:15]
	s_xor_b64 s[14:15], exec, s[16:17]
; %bb.291:
	v_lshl_add_u32 v20, v55, 3, v47
	ds_read_b64 v[20:21], v20 offset:8
; %bb.292:
	s_or_saveexec_b64 s[14:15], s[14:15]
	s_waitcnt lgkmcnt(0)
	v_mov_b32_e32 v22, v16
	v_mov_b32_e32 v23, v17
	s_xor_b64 exec, exec, s[14:15]
; %bb.293:
	v_lshl_add_u32 v20, v54, 3, v47
	ds_read_b64 v[22:23], v20 offset:8
	v_mov_b32_e32 v21, v19
	v_mov_b32_e32 v20, v18
; %bb.294:
	s_or_b64 exec, exec, s[14:15]
	v_add_u32_e32 v24, 1, v54
	v_add_u32_e32 v25, 1, v55
	v_cndmask_b32_e64 v56, v54, v24, s[20:21]
	v_cndmask_b32_e64 v57, v25, v55, s[20:21]
	v_cmp_lt_i32_e64 s[14:15], v56, v51
	s_mov_b64 s[22:23], 0
	s_and_saveexec_b64 s[24:25], s[14:15]
	s_cbranch_execz .LBB13_300
; %bb.295:
	v_cmp_lt_i32_e64 s[14:15], v57, v50
	s_waitcnt lgkmcnt(0)
	v_cmp_nlt_f32_e64 s[16:17], v22, v20
	s_and_b64 s[22:23], s[14:15], s[16:17]
	s_mov_b64 s[14:15], -1
	s_and_saveexec_b64 s[16:17], s[22:23]
	s_cbranch_execz .LBB13_299
; %bb.296:
	v_cmp_eq_f32_e64 s[14:15], v22, v20
	s_mov_b64 s[22:23], 0
	s_and_saveexec_b64 s[26:27], s[14:15]
; %bb.297:
	v_cmp_lt_f32_e64 s[14:15], v23, v21
	s_and_b64 s[22:23], s[14:15], exec
; %bb.298:
	s_or_b64 exec, exec, s[26:27]
	s_orn2_b64 s[14:15], s[22:23], exec
.LBB13_299:
	s_or_b64 exec, exec, s[16:17]
	s_and_b64 s[22:23], s[14:15], exec
.LBB13_300:
	s_or_b64 exec, exec, s[24:25]
	s_xor_b64 s[14:15], s[22:23], -1
                                        ; implicit-def: $vgpr24
	s_and_saveexec_b64 s[16:17], s[14:15]
	s_xor_b64 s[14:15], exec, s[16:17]
; %bb.301:
	v_lshl_add_u32 v24, v57, 3, v47
	ds_read_b64 v[24:25], v24 offset:8
; %bb.302:
	s_or_saveexec_b64 s[14:15], s[14:15]
	s_waitcnt lgkmcnt(0)
	v_mov_b32_e32 v26, v22
	v_mov_b32_e32 v27, v23
	s_xor_b64 exec, exec, s[14:15]
; %bb.303:
	v_lshl_add_u32 v24, v56, 3, v47
	ds_read_b64 v[26:27], v24 offset:8
	v_mov_b32_e32 v25, v21
	v_mov_b32_e32 v24, v20
; %bb.304:
	s_or_b64 exec, exec, s[14:15]
	v_add_u32_e32 v28, 1, v56
	v_add_u32_e32 v29, 1, v57
	v_cndmask_b32_e64 v58, v56, v28, s[22:23]
	v_cndmask_b32_e64 v59, v29, v57, s[22:23]
	v_cmp_lt_i32_e64 s[14:15], v58, v51
	s_mov_b64 s[24:25], 0
	s_and_saveexec_b64 s[26:27], s[14:15]
	s_cbranch_execz .LBB13_310
; %bb.305:
	v_cmp_lt_i32_e64 s[14:15], v59, v50
	s_waitcnt lgkmcnt(0)
	v_cmp_nlt_f32_e64 s[16:17], v26, v24
	s_and_b64 s[24:25], s[14:15], s[16:17]
	s_mov_b64 s[14:15], -1
	s_and_saveexec_b64 s[16:17], s[24:25]
	s_cbranch_execz .LBB13_309
; %bb.306:
	v_cmp_eq_f32_e64 s[14:15], v26, v24
	s_mov_b64 s[24:25], 0
	s_and_saveexec_b64 s[28:29], s[14:15]
; %bb.307:
	v_cmp_lt_f32_e64 s[14:15], v27, v25
	s_and_b64 s[24:25], s[14:15], exec
; %bb.308:
	s_or_b64 exec, exec, s[28:29]
	s_orn2_b64 s[14:15], s[24:25], exec
.LBB13_309:
	s_or_b64 exec, exec, s[16:17]
	s_and_b64 s[24:25], s[14:15], exec
.LBB13_310:
	s_or_b64 exec, exec, s[26:27]
	s_xor_b64 s[14:15], s[24:25], -1
                                        ; implicit-def: $vgpr28
	s_and_saveexec_b64 s[16:17], s[14:15]
	s_xor_b64 s[14:15], exec, s[16:17]
; %bb.311:
	v_lshl_add_u32 v28, v59, 3, v47
	ds_read_b64 v[28:29], v28 offset:8
; %bb.312:
	s_or_saveexec_b64 s[14:15], s[14:15]
	s_waitcnt lgkmcnt(0)
	v_mov_b32_e32 v30, v26
	v_mov_b32_e32 v31, v27
	s_xor_b64 exec, exec, s[14:15]
; %bb.313:
	v_lshl_add_u32 v28, v58, 3, v47
	ds_read_b64 v[30:31], v28 offset:8
	v_mov_b32_e32 v29, v25
	v_mov_b32_e32 v28, v24
; %bb.314:
	s_or_b64 exec, exec, s[14:15]
	v_add_u32_e32 v32, 1, v58
	v_add_u32_e32 v33, 1, v59
	v_cndmask_b32_e64 v60, v58, v32, s[24:25]
	v_cndmask_b32_e64 v61, v33, v59, s[24:25]
	v_cmp_lt_i32_e64 s[14:15], v60, v51
	s_mov_b64 s[26:27], 0
	s_and_saveexec_b64 s[28:29], s[14:15]
	s_cbranch_execz .LBB13_320
; %bb.315:
	v_cmp_lt_i32_e64 s[14:15], v61, v50
	s_waitcnt lgkmcnt(0)
	v_cmp_nlt_f32_e64 s[16:17], v30, v28
	s_and_b64 s[26:27], s[14:15], s[16:17]
	s_mov_b64 s[14:15], -1
	s_and_saveexec_b64 s[16:17], s[26:27]
	s_cbranch_execz .LBB13_319
; %bb.316:
	v_cmp_eq_f32_e64 s[14:15], v30, v28
	s_mov_b64 s[26:27], 0
	s_and_saveexec_b64 s[30:31], s[14:15]
; %bb.317:
	v_cmp_lt_f32_e64 s[14:15], v31, v29
	s_and_b64 s[26:27], s[14:15], exec
; %bb.318:
	s_or_b64 exec, exec, s[30:31]
	s_orn2_b64 s[14:15], s[26:27], exec
.LBB13_319:
	s_or_b64 exec, exec, s[16:17]
	s_and_b64 s[26:27], s[14:15], exec
.LBB13_320:
	s_or_b64 exec, exec, s[28:29]
	s_xor_b64 s[14:15], s[26:27], -1
                                        ; implicit-def: $vgpr32
	s_and_saveexec_b64 s[16:17], s[14:15]
	s_xor_b64 s[14:15], exec, s[16:17]
; %bb.321:
	v_lshl_add_u32 v32, v61, 3, v47
	ds_read_b64 v[32:33], v32 offset:8
; %bb.322:
	s_or_saveexec_b64 s[14:15], s[14:15]
	s_waitcnt lgkmcnt(0)
	v_mov_b32_e32 v34, v30
	v_mov_b32_e32 v35, v31
	s_xor_b64 exec, exec, s[14:15]
; %bb.323:
	v_lshl_add_u32 v32, v60, 3, v47
	ds_read_b64 v[34:35], v32 offset:8
	v_mov_b32_e32 v33, v29
	v_mov_b32_e32 v32, v28
; %bb.324:
	s_or_b64 exec, exec, s[14:15]
	v_add_u32_e32 v36, 1, v60
	v_add_u32_e32 v37, 1, v61
	v_cndmask_b32_e64 v62, v60, v36, s[26:27]
	v_cndmask_b32_e64 v63, v37, v61, s[26:27]
	v_cmp_lt_i32_e64 s[14:15], v62, v51
	s_mov_b64 s[28:29], 0
	s_and_saveexec_b64 s[30:31], s[14:15]
	s_cbranch_execz .LBB13_330
; %bb.325:
	v_cmp_lt_i32_e64 s[14:15], v63, v50
	s_waitcnt lgkmcnt(0)
	v_cmp_nlt_f32_e64 s[16:17], v34, v32
	s_and_b64 s[28:29], s[14:15], s[16:17]
	s_mov_b64 s[14:15], -1
	s_and_saveexec_b64 s[16:17], s[28:29]
	s_cbranch_execz .LBB13_329
; %bb.326:
	v_cmp_eq_f32_e64 s[14:15], v34, v32
	s_mov_b64 s[28:29], 0
	s_and_saveexec_b64 s[34:35], s[14:15]
; %bb.327:
	v_cmp_lt_f32_e64 s[14:15], v35, v33
	s_and_b64 s[28:29], s[14:15], exec
; %bb.328:
	s_or_b64 exec, exec, s[34:35]
	s_orn2_b64 s[14:15], s[28:29], exec
.LBB13_329:
	s_or_b64 exec, exec, s[16:17]
	s_and_b64 s[28:29], s[14:15], exec
.LBB13_330:
	s_or_b64 exec, exec, s[30:31]
	s_xor_b64 s[14:15], s[28:29], -1
                                        ; implicit-def: $vgpr36
	s_and_saveexec_b64 s[16:17], s[14:15]
	s_xor_b64 s[14:15], exec, s[16:17]
; %bb.331:
	v_lshl_add_u32 v36, v63, 3, v47
	ds_read_b64 v[36:37], v36 offset:8
; %bb.332:
	s_or_saveexec_b64 s[14:15], s[14:15]
	s_waitcnt lgkmcnt(0)
	v_mov_b32_e32 v38, v34
	v_mov_b32_e32 v39, v35
	s_xor_b64 exec, exec, s[14:15]
; %bb.333:
	v_lshl_add_u32 v36, v62, 3, v47
	ds_read_b64 v[38:39], v36 offset:8
	v_mov_b32_e32 v37, v33
	v_mov_b32_e32 v36, v32
; %bb.334:
	s_or_b64 exec, exec, s[14:15]
	v_add_u32_e32 v40, 1, v62
	v_add_u32_e32 v41, 1, v63
	v_cndmask_b32_e64 v64, v62, v40, s[28:29]
	v_cndmask_b32_e64 v65, v41, v63, s[28:29]
	v_cmp_lt_i32_e64 s[14:15], v64, v51
	s_mov_b64 s[30:31], 0
	s_and_saveexec_b64 s[34:35], s[14:15]
	s_cbranch_execz .LBB13_340
; %bb.335:
	v_cmp_lt_i32_e64 s[14:15], v65, v50
	s_waitcnt lgkmcnt(0)
	v_cmp_nlt_f32_e64 s[16:17], v38, v36
	s_and_b64 s[30:31], s[14:15], s[16:17]
	s_mov_b64 s[14:15], -1
	s_and_saveexec_b64 s[16:17], s[30:31]
	s_cbranch_execz .LBB13_339
; %bb.336:
	v_cmp_eq_f32_e64 s[14:15], v38, v36
	s_mov_b64 s[30:31], 0
	s_and_saveexec_b64 s[36:37], s[14:15]
; %bb.337:
	v_cmp_lt_f32_e64 s[14:15], v39, v37
	s_and_b64 s[30:31], s[14:15], exec
; %bb.338:
	s_or_b64 exec, exec, s[36:37]
	s_orn2_b64 s[14:15], s[30:31], exec
.LBB13_339:
	s_or_b64 exec, exec, s[16:17]
	s_and_b64 s[30:31], s[14:15], exec
.LBB13_340:
	s_or_b64 exec, exec, s[34:35]
	s_xor_b64 s[14:15], s[30:31], -1
                                        ; implicit-def: $vgpr40
	s_and_saveexec_b64 s[16:17], s[14:15]
	s_xor_b64 s[14:15], exec, s[16:17]
; %bb.341:
	v_lshl_add_u32 v40, v65, 3, v47
	ds_read_b64 v[40:41], v40 offset:8
; %bb.342:
	s_or_saveexec_b64 s[14:15], s[14:15]
	s_waitcnt lgkmcnt(0)
	v_mov_b32_e32 v42, v38
	v_mov_b32_e32 v43, v39
	s_xor_b64 exec, exec, s[14:15]
; %bb.343:
	v_lshl_add_u32 v40, v64, 3, v47
	ds_read_b64 v[42:43], v40 offset:8
	v_mov_b32_e32 v41, v37
	v_mov_b32_e32 v40, v36
; %bb.344:
	s_or_b64 exec, exec, s[14:15]
	v_add_u32_e32 v66, 1, v64
	v_add_u32_e32 v67, 1, v65
	v_cndmask_b32_e64 v66, v64, v66, s[30:31]
	v_cndmask_b32_e64 v67, v67, v65, s[30:31]
	v_cmp_lt_i32_e64 s[14:15], v66, v51
	s_mov_b64 s[16:17], 0
	s_and_saveexec_b64 s[34:35], s[14:15]
	s_cbranch_execz .LBB13_350
; %bb.345:
	v_cmp_lt_i32_e64 s[14:15], v67, v50
	s_waitcnt lgkmcnt(0)
	v_cmp_nlt_f32_e64 s[16:17], v42, v40
	s_and_b64 s[36:37], s[14:15], s[16:17]
	s_mov_b64 s[14:15], -1
	s_and_saveexec_b64 s[16:17], s[36:37]
	s_cbranch_execz .LBB13_349
; %bb.346:
	v_cmp_eq_f32_e64 s[14:15], v42, v40
	s_mov_b64 s[36:37], 0
	s_and_saveexec_b64 s[38:39], s[14:15]
; %bb.347:
	v_cmp_lt_f32_e64 s[14:15], v43, v41
	s_and_b64 s[36:37], s[14:15], exec
; %bb.348:
	s_or_b64 exec, exec, s[38:39]
	s_orn2_b64 s[14:15], s[36:37], exec
.LBB13_349:
	s_or_b64 exec, exec, s[16:17]
	s_and_b64 s[16:17], s[14:15], exec
.LBB13_350:
	s_or_b64 exec, exec, s[34:35]
	v_cndmask_b32_e64 v24, v24, v26, s[24:25]
	v_cndmask_b32_e64 v26, v59, v58, s[24:25]
	;; [unrolled: 1-line block ×16, first 2 shown]
	; wave barrier
	ds_write2_b64 v49, v[6:7], v[10:11] offset1:1
	ds_write2_b64 v49, v[4:5], v[8:9] offset0:2 offset1:3
	v_lshl_add_u32 v4, v19, 2, v47
	v_lshl_add_u32 v5, v18, 2, v47
	;; [unrolled: 1-line block ×4, first 2 shown]
	v_cndmask_b32_e64 v12, v14, v12, s[18:19]
	v_cndmask_b32_e64 v13, v15, v13, s[18:19]
	; wave barrier
	v_lshl_add_u32 v18, v30, 2, v47
	v_lshl_add_u32 v19, v34, 2, v47
	;; [unrolled: 1-line block ×4, first 2 shown]
	ds_read_b32 v6, v4
	ds_read_b32 v7, v5
	;; [unrolled: 1-line block ×8, first 2 shown]
	v_cndmask_b32_e64 v37, v37, v39, s[30:31]
	v_cndmask_b32_e64 v33, v33, v35, s[28:29]
	;; [unrolled: 1-line block ×4, first 2 shown]
	s_waitcnt lgkmcnt(10)
	v_cndmask_b32_e64 v14, v40, v42, s[16:17]
	v_cndmask_b32_e64 v15, v41, v43, s[16:17]
	; wave barrier
	ds_write2_b64 v48, v[12:13], v[16:17] offset1:1
	ds_write2_b64 v48, v[20:21], v[24:25] offset0:2 offset1:3
	ds_write2_b64 v48, v[28:29], v[32:33] offset0:4 offset1:5
	;; [unrolled: 1-line block ×3, first 2 shown]
	v_and_b32_e32 v13, 0xc0, v46
	v_min_i32_e32 v16, v44, v13
	v_add_u32_e32 v13, 32, v16
	v_min_i32_e32 v50, v44, v13
	v_add_u32_e32 v13, 32, v50
	v_and_b32_e32 v12, 56, v46
	v_min_i32_e32 v51, v44, v13
	v_min_i32_e32 v12, v44, v12
	v_sub_u32_e32 v15, v51, v50
	v_sub_u32_e32 v13, v50, v16
	;; [unrolled: 1-line block ×3, first 2 shown]
	v_cmp_ge_i32_e64 s[14:15], v12, v15
	v_cndmask_b32_e64 v17, 0, v17, s[14:15]
	v_min_i32_e32 v13, v12, v13
	v_lshl_add_u32 v14, v16, 3, v47
	v_cmp_lt_i32_e64 s[14:15], v17, v13
	; wave barrier
	s_and_saveexec_b64 s[16:17], s[14:15]
	s_cbranch_execz .LBB13_358
; %bb.351:
	v_lshlrev_b32_e32 v15, 3, v50
	v_lshlrev_b32_e32 v18, 3, v12
	v_add3_u32 v15, v47, v15, v18
	s_mov_b64 s[18:19], 0
                                        ; implicit-def: $sgpr20_sgpr21
	s_branch .LBB13_354
.LBB13_352:                             ;   in Loop: Header=BB13_354 Depth=1
	s_or_b64 exec, exec, s[26:27]
	s_andn2_b64 s[14:15], s[20:21], exec
	s_and_b64 s[20:21], s[24:25], exec
	s_or_b64 s[20:21], s[14:15], s[20:21]
.LBB13_353:                             ;   in Loop: Header=BB13_354 Depth=1
	s_or_b64 exec, exec, s[22:23]
	v_add_u32_e32 v19, 1, v18
	v_cndmask_b32_e64 v13, v13, v18, s[20:21]
	v_cndmask_b32_e64 v17, v19, v17, s[20:21]
	v_cmp_ge_i32_e64 s[14:15], v17, v13
	s_or_b64 s[18:19], s[14:15], s[18:19]
	s_andn2_b64 exec, exec, s[18:19]
	s_cbranch_execz .LBB13_357
.LBB13_354:                             ; =>This Inner Loop Header: Depth=1
	v_sub_u32_e32 v18, v13, v17
	v_lshrrev_b32_e32 v18, 1, v18
	v_add_u32_e32 v18, v18, v17
	v_lshl_add_u32 v19, v18, 3, v14
	v_not_b32_e32 v20, v18
	v_lshl_add_u32 v20, v20, 3, v15
	ds_read_b32 v21, v19
	ds_read_b32 v22, v20
	s_or_b64 s[20:21], s[20:21], exec
	s_waitcnt lgkmcnt(0)
	v_cmp_nlt_f32_e64 s[14:15], v22, v21
	s_and_saveexec_b64 s[22:23], s[14:15]
	s_cbranch_execz .LBB13_353
; %bb.355:                              ;   in Loop: Header=BB13_354 Depth=1
	v_cmp_eq_f32_e64 s[14:15], v22, v21
	s_mov_b64 s[24:25], 0
	s_and_saveexec_b64 s[26:27], s[14:15]
	s_cbranch_execz .LBB13_352
; %bb.356:                              ;   in Loop: Header=BB13_354 Depth=1
	ds_read_b32 v20, v20 offset:4
	ds_read_b32 v19, v19 offset:4
	s_waitcnt lgkmcnt(0)
	v_cmp_lt_f32_e64 s[14:15], v20, v19
	s_and_b64 s[24:25], s[14:15], exec
	s_branch .LBB13_352
.LBB13_357:
	s_or_b64 exec, exec, s[18:19]
.LBB13_358:
	s_or_b64 exec, exec, s[16:17]
	v_add_u32_e32 v12, v50, v12
	v_sub_u32_e32 v52, v12, v17
	v_lshl_add_u32 v20, v52, 3, v47
	ds_read_b64 v[12:13], v20
	v_lshl_add_u32 v19, v17, 3, v14
	ds_read_b64 v[14:15], v19
	v_add_u32_e32 v53, v17, v16
	v_cmp_gt_i32_e64 s[14:15], v51, v52
	s_waitcnt lgkmcnt(1)
	v_mov_b32_e32 v16, v12
	v_mov_b32_e32 v17, v13
	s_mov_b64 s[18:19], 0
	s_and_saveexec_b64 s[20:21], s[14:15]
	s_cbranch_execz .LBB13_364
; %bb.359:
	v_cmp_gt_i32_e64 s[14:15], v50, v53
	s_waitcnt lgkmcnt(0)
	v_cmp_nlt_f32_e64 s[16:17], v12, v14
	s_and_b64 s[18:19], s[14:15], s[16:17]
	s_mov_b64 s[14:15], -1
	s_and_saveexec_b64 s[16:17], s[18:19]
	s_cbranch_execz .LBB13_363
; %bb.360:
	v_cmp_eq_f32_e64 s[14:15], v12, v14
	s_mov_b64 s[18:19], 0
	s_and_saveexec_b64 s[22:23], s[14:15]
; %bb.361:
	v_cmp_lt_f32_e64 s[14:15], v13, v15
	s_and_b64 s[18:19], s[14:15], exec
; %bb.362:
	s_or_b64 exec, exec, s[22:23]
	s_orn2_b64 s[14:15], s[18:19], exec
.LBB13_363:
	s_or_b64 exec, exec, s[16:17]
	s_and_b64 s[18:19], s[14:15], exec
.LBB13_364:
	s_or_b64 exec, exec, s[20:21]
	s_xor_b64 s[14:15], s[18:19], -1
                                        ; implicit-def: $vgpr18
	s_and_saveexec_b64 s[16:17], s[14:15]
	s_xor_b64 s[14:15], exec, s[16:17]
; %bb.365:
	ds_read_b64 v[18:19], v19 offset:8
                                        ; implicit-def: $vgpr20
; %bb.366:
	s_andn2_saveexec_b64 s[14:15], s[14:15]
	s_cbranch_execz .LBB13_368
; %bb.367:
	ds_read_b64 v[16:17], v20 offset:8
	s_waitcnt lgkmcnt(1)
	v_mov_b32_e32 v19, v15
	v_mov_b32_e32 v18, v14
.LBB13_368:
	s_or_b64 exec, exec, s[14:15]
	v_add_u32_e32 v20, 1, v52
	v_add_u32_e32 v21, 1, v53
	v_cndmask_b32_e64 v54, v52, v20, s[18:19]
	v_cndmask_b32_e64 v55, v21, v53, s[18:19]
	v_cmp_lt_i32_e64 s[14:15], v54, v51
	s_mov_b64 s[20:21], 0
	s_and_saveexec_b64 s[22:23], s[14:15]
	s_cbranch_execz .LBB13_374
; %bb.369:
	v_cmp_lt_i32_e64 s[14:15], v55, v50
	s_waitcnt lgkmcnt(0)
	v_cmp_nlt_f32_e64 s[16:17], v16, v18
	s_and_b64 s[20:21], s[14:15], s[16:17]
	s_mov_b64 s[14:15], -1
	s_and_saveexec_b64 s[16:17], s[20:21]
	s_cbranch_execz .LBB13_373
; %bb.370:
	v_cmp_eq_f32_e64 s[14:15], v16, v18
	s_mov_b64 s[20:21], 0
	s_and_saveexec_b64 s[24:25], s[14:15]
; %bb.371:
	v_cmp_lt_f32_e64 s[14:15], v17, v19
	s_and_b64 s[20:21], s[14:15], exec
; %bb.372:
	s_or_b64 exec, exec, s[24:25]
	s_orn2_b64 s[14:15], s[20:21], exec
.LBB13_373:
	s_or_b64 exec, exec, s[16:17]
	s_and_b64 s[20:21], s[14:15], exec
.LBB13_374:
	s_or_b64 exec, exec, s[22:23]
	s_xor_b64 s[14:15], s[20:21], -1
                                        ; implicit-def: $vgpr20
	s_and_saveexec_b64 s[16:17], s[14:15]
	s_xor_b64 s[14:15], exec, s[16:17]
; %bb.375:
	v_lshl_add_u32 v20, v55, 3, v47
	ds_read_b64 v[20:21], v20 offset:8
; %bb.376:
	s_or_saveexec_b64 s[14:15], s[14:15]
	s_waitcnt lgkmcnt(0)
	v_mov_b32_e32 v22, v16
	v_mov_b32_e32 v23, v17
	s_xor_b64 exec, exec, s[14:15]
; %bb.377:
	v_lshl_add_u32 v20, v54, 3, v47
	ds_read_b64 v[22:23], v20 offset:8
	v_mov_b32_e32 v21, v19
	v_mov_b32_e32 v20, v18
; %bb.378:
	s_or_b64 exec, exec, s[14:15]
	v_add_u32_e32 v24, 1, v54
	v_add_u32_e32 v25, 1, v55
	v_cndmask_b32_e64 v56, v54, v24, s[20:21]
	v_cndmask_b32_e64 v57, v25, v55, s[20:21]
	v_cmp_lt_i32_e64 s[14:15], v56, v51
	s_mov_b64 s[22:23], 0
	s_and_saveexec_b64 s[24:25], s[14:15]
	s_cbranch_execz .LBB13_384
; %bb.379:
	v_cmp_lt_i32_e64 s[14:15], v57, v50
	s_waitcnt lgkmcnt(0)
	v_cmp_nlt_f32_e64 s[16:17], v22, v20
	s_and_b64 s[22:23], s[14:15], s[16:17]
	s_mov_b64 s[14:15], -1
	s_and_saveexec_b64 s[16:17], s[22:23]
	s_cbranch_execz .LBB13_383
; %bb.380:
	v_cmp_eq_f32_e64 s[14:15], v22, v20
	s_mov_b64 s[22:23], 0
	s_and_saveexec_b64 s[26:27], s[14:15]
; %bb.381:
	v_cmp_lt_f32_e64 s[14:15], v23, v21
	s_and_b64 s[22:23], s[14:15], exec
; %bb.382:
	s_or_b64 exec, exec, s[26:27]
	s_orn2_b64 s[14:15], s[22:23], exec
.LBB13_383:
	s_or_b64 exec, exec, s[16:17]
	s_and_b64 s[22:23], s[14:15], exec
.LBB13_384:
	s_or_b64 exec, exec, s[24:25]
	s_xor_b64 s[14:15], s[22:23], -1
                                        ; implicit-def: $vgpr24
	s_and_saveexec_b64 s[16:17], s[14:15]
	s_xor_b64 s[14:15], exec, s[16:17]
; %bb.385:
	v_lshl_add_u32 v24, v57, 3, v47
	ds_read_b64 v[24:25], v24 offset:8
; %bb.386:
	s_or_saveexec_b64 s[14:15], s[14:15]
	s_waitcnt lgkmcnt(0)
	v_mov_b32_e32 v26, v22
	v_mov_b32_e32 v27, v23
	s_xor_b64 exec, exec, s[14:15]
; %bb.387:
	v_lshl_add_u32 v24, v56, 3, v47
	ds_read_b64 v[26:27], v24 offset:8
	v_mov_b32_e32 v25, v21
	v_mov_b32_e32 v24, v20
; %bb.388:
	s_or_b64 exec, exec, s[14:15]
	v_add_u32_e32 v28, 1, v56
	v_add_u32_e32 v29, 1, v57
	v_cndmask_b32_e64 v58, v56, v28, s[22:23]
	v_cndmask_b32_e64 v59, v29, v57, s[22:23]
	v_cmp_lt_i32_e64 s[14:15], v58, v51
	s_mov_b64 s[24:25], 0
	s_and_saveexec_b64 s[26:27], s[14:15]
	s_cbranch_execz .LBB13_394
; %bb.389:
	v_cmp_lt_i32_e64 s[14:15], v59, v50
	s_waitcnt lgkmcnt(0)
	v_cmp_nlt_f32_e64 s[16:17], v26, v24
	s_and_b64 s[24:25], s[14:15], s[16:17]
	s_mov_b64 s[14:15], -1
	s_and_saveexec_b64 s[16:17], s[24:25]
	s_cbranch_execz .LBB13_393
; %bb.390:
	v_cmp_eq_f32_e64 s[14:15], v26, v24
	s_mov_b64 s[24:25], 0
	s_and_saveexec_b64 s[28:29], s[14:15]
; %bb.391:
	v_cmp_lt_f32_e64 s[14:15], v27, v25
	s_and_b64 s[24:25], s[14:15], exec
; %bb.392:
	s_or_b64 exec, exec, s[28:29]
	s_orn2_b64 s[14:15], s[24:25], exec
.LBB13_393:
	s_or_b64 exec, exec, s[16:17]
	s_and_b64 s[24:25], s[14:15], exec
.LBB13_394:
	s_or_b64 exec, exec, s[26:27]
	s_xor_b64 s[14:15], s[24:25], -1
                                        ; implicit-def: $vgpr28
	s_and_saveexec_b64 s[16:17], s[14:15]
	s_xor_b64 s[14:15], exec, s[16:17]
; %bb.395:
	v_lshl_add_u32 v28, v59, 3, v47
	ds_read_b64 v[28:29], v28 offset:8
; %bb.396:
	s_or_saveexec_b64 s[14:15], s[14:15]
	s_waitcnt lgkmcnt(0)
	v_mov_b32_e32 v30, v26
	v_mov_b32_e32 v31, v27
	s_xor_b64 exec, exec, s[14:15]
; %bb.397:
	v_lshl_add_u32 v28, v58, 3, v47
	ds_read_b64 v[30:31], v28 offset:8
	v_mov_b32_e32 v29, v25
	v_mov_b32_e32 v28, v24
; %bb.398:
	s_or_b64 exec, exec, s[14:15]
	v_add_u32_e32 v32, 1, v58
	v_add_u32_e32 v33, 1, v59
	v_cndmask_b32_e64 v60, v58, v32, s[24:25]
	v_cndmask_b32_e64 v61, v33, v59, s[24:25]
	v_cmp_lt_i32_e64 s[14:15], v60, v51
	s_mov_b64 s[26:27], 0
	s_and_saveexec_b64 s[28:29], s[14:15]
	s_cbranch_execz .LBB13_404
; %bb.399:
	v_cmp_lt_i32_e64 s[14:15], v61, v50
	s_waitcnt lgkmcnt(0)
	v_cmp_nlt_f32_e64 s[16:17], v30, v28
	s_and_b64 s[26:27], s[14:15], s[16:17]
	s_mov_b64 s[14:15], -1
	s_and_saveexec_b64 s[16:17], s[26:27]
	s_cbranch_execz .LBB13_403
; %bb.400:
	v_cmp_eq_f32_e64 s[14:15], v30, v28
	s_mov_b64 s[26:27], 0
	s_and_saveexec_b64 s[30:31], s[14:15]
; %bb.401:
	v_cmp_lt_f32_e64 s[14:15], v31, v29
	s_and_b64 s[26:27], s[14:15], exec
; %bb.402:
	s_or_b64 exec, exec, s[30:31]
	s_orn2_b64 s[14:15], s[26:27], exec
.LBB13_403:
	s_or_b64 exec, exec, s[16:17]
	s_and_b64 s[26:27], s[14:15], exec
.LBB13_404:
	s_or_b64 exec, exec, s[28:29]
	s_xor_b64 s[14:15], s[26:27], -1
                                        ; implicit-def: $vgpr32
	s_and_saveexec_b64 s[16:17], s[14:15]
	s_xor_b64 s[14:15], exec, s[16:17]
; %bb.405:
	v_lshl_add_u32 v32, v61, 3, v47
	ds_read_b64 v[32:33], v32 offset:8
; %bb.406:
	s_or_saveexec_b64 s[14:15], s[14:15]
	s_waitcnt lgkmcnt(0)
	v_mov_b32_e32 v34, v30
	v_mov_b32_e32 v35, v31
	s_xor_b64 exec, exec, s[14:15]
; %bb.407:
	v_lshl_add_u32 v32, v60, 3, v47
	ds_read_b64 v[34:35], v32 offset:8
	v_mov_b32_e32 v33, v29
	v_mov_b32_e32 v32, v28
; %bb.408:
	s_or_b64 exec, exec, s[14:15]
	v_add_u32_e32 v36, 1, v60
	v_add_u32_e32 v37, 1, v61
	v_cndmask_b32_e64 v62, v60, v36, s[26:27]
	v_cndmask_b32_e64 v63, v37, v61, s[26:27]
	v_cmp_lt_i32_e64 s[14:15], v62, v51
	s_mov_b64 s[28:29], 0
	s_and_saveexec_b64 s[30:31], s[14:15]
	s_cbranch_execz .LBB13_414
; %bb.409:
	v_cmp_lt_i32_e64 s[14:15], v63, v50
	s_waitcnt lgkmcnt(0)
	v_cmp_nlt_f32_e64 s[16:17], v34, v32
	s_and_b64 s[28:29], s[14:15], s[16:17]
	s_mov_b64 s[14:15], -1
	s_and_saveexec_b64 s[16:17], s[28:29]
	s_cbranch_execz .LBB13_413
; %bb.410:
	v_cmp_eq_f32_e64 s[14:15], v34, v32
	s_mov_b64 s[28:29], 0
	s_and_saveexec_b64 s[34:35], s[14:15]
; %bb.411:
	v_cmp_lt_f32_e64 s[14:15], v35, v33
	s_and_b64 s[28:29], s[14:15], exec
; %bb.412:
	s_or_b64 exec, exec, s[34:35]
	s_orn2_b64 s[14:15], s[28:29], exec
.LBB13_413:
	s_or_b64 exec, exec, s[16:17]
	s_and_b64 s[28:29], s[14:15], exec
.LBB13_414:
	s_or_b64 exec, exec, s[30:31]
	s_xor_b64 s[14:15], s[28:29], -1
                                        ; implicit-def: $vgpr36
	s_and_saveexec_b64 s[16:17], s[14:15]
	s_xor_b64 s[14:15], exec, s[16:17]
; %bb.415:
	v_lshl_add_u32 v36, v63, 3, v47
	ds_read_b64 v[36:37], v36 offset:8
; %bb.416:
	s_or_saveexec_b64 s[14:15], s[14:15]
	s_waitcnt lgkmcnt(0)
	v_mov_b32_e32 v38, v34
	v_mov_b32_e32 v39, v35
	s_xor_b64 exec, exec, s[14:15]
; %bb.417:
	v_lshl_add_u32 v36, v62, 3, v47
	ds_read_b64 v[38:39], v36 offset:8
	v_mov_b32_e32 v37, v33
	v_mov_b32_e32 v36, v32
; %bb.418:
	s_or_b64 exec, exec, s[14:15]
	v_add_u32_e32 v40, 1, v62
	v_add_u32_e32 v41, 1, v63
	v_cndmask_b32_e64 v64, v62, v40, s[28:29]
	v_cndmask_b32_e64 v65, v41, v63, s[28:29]
	v_cmp_lt_i32_e64 s[14:15], v64, v51
	s_mov_b64 s[30:31], 0
	s_and_saveexec_b64 s[34:35], s[14:15]
	s_cbranch_execz .LBB13_424
; %bb.419:
	v_cmp_lt_i32_e64 s[14:15], v65, v50
	s_waitcnt lgkmcnt(0)
	v_cmp_nlt_f32_e64 s[16:17], v38, v36
	s_and_b64 s[30:31], s[14:15], s[16:17]
	s_mov_b64 s[14:15], -1
	s_and_saveexec_b64 s[16:17], s[30:31]
	s_cbranch_execz .LBB13_423
; %bb.420:
	v_cmp_eq_f32_e64 s[14:15], v38, v36
	s_mov_b64 s[30:31], 0
	s_and_saveexec_b64 s[36:37], s[14:15]
; %bb.421:
	v_cmp_lt_f32_e64 s[14:15], v39, v37
	s_and_b64 s[30:31], s[14:15], exec
; %bb.422:
	s_or_b64 exec, exec, s[36:37]
	s_orn2_b64 s[14:15], s[30:31], exec
.LBB13_423:
	s_or_b64 exec, exec, s[16:17]
	s_and_b64 s[30:31], s[14:15], exec
.LBB13_424:
	s_or_b64 exec, exec, s[34:35]
	s_xor_b64 s[14:15], s[30:31], -1
                                        ; implicit-def: $vgpr40
	s_and_saveexec_b64 s[16:17], s[14:15]
	s_xor_b64 s[14:15], exec, s[16:17]
; %bb.425:
	v_lshl_add_u32 v40, v65, 3, v47
	ds_read_b64 v[40:41], v40 offset:8
; %bb.426:
	s_or_saveexec_b64 s[14:15], s[14:15]
	s_waitcnt lgkmcnt(0)
	v_mov_b32_e32 v42, v38
	v_mov_b32_e32 v43, v39
	s_xor_b64 exec, exec, s[14:15]
; %bb.427:
	v_lshl_add_u32 v40, v64, 3, v47
	ds_read_b64 v[42:43], v40 offset:8
	v_mov_b32_e32 v41, v37
	v_mov_b32_e32 v40, v36
; %bb.428:
	s_or_b64 exec, exec, s[14:15]
	v_add_u32_e32 v66, 1, v64
	v_add_u32_e32 v67, 1, v65
	v_cndmask_b32_e64 v66, v64, v66, s[30:31]
	v_cndmask_b32_e64 v67, v67, v65, s[30:31]
	v_cmp_lt_i32_e64 s[14:15], v66, v51
	s_mov_b64 s[16:17], 0
	s_and_saveexec_b64 s[34:35], s[14:15]
	s_cbranch_execz .LBB13_434
; %bb.429:
	v_cmp_lt_i32_e64 s[14:15], v67, v50
	s_waitcnt lgkmcnt(0)
	v_cmp_nlt_f32_e64 s[16:17], v42, v40
	s_and_b64 s[36:37], s[14:15], s[16:17]
	s_mov_b64 s[14:15], -1
	s_and_saveexec_b64 s[16:17], s[36:37]
	s_cbranch_execz .LBB13_433
; %bb.430:
	v_cmp_eq_f32_e64 s[14:15], v42, v40
	s_mov_b64 s[36:37], 0
	s_and_saveexec_b64 s[38:39], s[14:15]
; %bb.431:
	v_cmp_lt_f32_e64 s[14:15], v43, v41
	s_and_b64 s[36:37], s[14:15], exec
; %bb.432:
	s_or_b64 exec, exec, s[38:39]
	s_orn2_b64 s[14:15], s[36:37], exec
.LBB13_433:
	s_or_b64 exec, exec, s[16:17]
	s_and_b64 s[16:17], s[14:15], exec
.LBB13_434:
	s_or_b64 exec, exec, s[34:35]
	v_cndmask_b32_e64 v24, v24, v26, s[24:25]
	v_cndmask_b32_e64 v26, v59, v58, s[24:25]
	;; [unrolled: 1-line block ×16, first 2 shown]
	; wave barrier
	ds_write2_b64 v49, v[6:7], v[10:11] offset1:1
	ds_write2_b64 v49, v[4:5], v[8:9] offset0:2 offset1:3
	v_lshl_add_u32 v4, v19, 2, v47
	v_lshl_add_u32 v5, v18, 2, v47
	v_lshl_add_u32 v8, v22, 2, v47
	v_lshl_add_u32 v9, v26, 2, v47
	v_cndmask_b32_e64 v12, v14, v12, s[18:19]
	v_cndmask_b32_e64 v13, v15, v13, s[18:19]
	; wave barrier
	v_lshl_add_u32 v18, v30, 2, v47
	v_lshl_add_u32 v19, v34, 2, v47
	v_lshl_add_u32 v22, v38, 2, v47
	v_lshl_add_u32 v23, v23, 2, v47
	ds_read_b32 v6, v4
	ds_read_b32 v7, v5
	;; [unrolled: 1-line block ×8, first 2 shown]
	v_cndmask_b32_e64 v37, v37, v39, s[30:31]
	v_cndmask_b32_e64 v33, v33, v35, s[28:29]
	;; [unrolled: 1-line block ×4, first 2 shown]
	s_waitcnt lgkmcnt(10)
	v_cndmask_b32_e64 v14, v40, v42, s[16:17]
	v_cndmask_b32_e64 v15, v41, v43, s[16:17]
	; wave barrier
	ds_write2_b64 v48, v[12:13], v[16:17] offset1:1
	ds_write2_b64 v48, v[20:21], v[24:25] offset0:2 offset1:3
	ds_write2_b64 v48, v[28:29], v[32:33] offset0:4 offset1:5
	;; [unrolled: 1-line block ×3, first 2 shown]
	v_and_b32_e32 v13, 0x80, v46
	v_min_i32_e32 v16, v44, v13
	v_add_u32_e32 v13, 64, v16
	v_and_b32_e32 v12, 0x78, v46
	v_min_i32_e32 v46, v44, v13
	v_add_u32_e32 v13, 64, v46
	v_min_i32_e32 v50, v44, v13
	v_min_i32_e32 v12, v44, v12
	v_sub_u32_e32 v15, v50, v46
	v_sub_u32_e32 v13, v46, v16
	;; [unrolled: 1-line block ×3, first 2 shown]
	v_cmp_ge_i32_e64 s[14:15], v12, v15
	v_cndmask_b32_e64 v17, 0, v17, s[14:15]
	v_min_i32_e32 v13, v12, v13
	v_lshl_add_u32 v14, v16, 3, v47
	v_cmp_lt_i32_e64 s[14:15], v17, v13
	; wave barrier
	s_and_saveexec_b64 s[16:17], s[14:15]
	s_cbranch_execz .LBB13_442
; %bb.435:
	v_lshlrev_b32_e32 v15, 3, v46
	v_lshlrev_b32_e32 v18, 3, v12
	v_add3_u32 v15, v47, v15, v18
	s_mov_b64 s[18:19], 0
                                        ; implicit-def: $sgpr20_sgpr21
	s_branch .LBB13_438
.LBB13_436:                             ;   in Loop: Header=BB13_438 Depth=1
	s_or_b64 exec, exec, s[26:27]
	s_andn2_b64 s[14:15], s[20:21], exec
	s_and_b64 s[20:21], s[24:25], exec
	s_or_b64 s[20:21], s[14:15], s[20:21]
.LBB13_437:                             ;   in Loop: Header=BB13_438 Depth=1
	s_or_b64 exec, exec, s[22:23]
	v_add_u32_e32 v19, 1, v18
	v_cndmask_b32_e64 v13, v13, v18, s[20:21]
	v_cndmask_b32_e64 v17, v19, v17, s[20:21]
	v_cmp_ge_i32_e64 s[14:15], v17, v13
	s_or_b64 s[18:19], s[14:15], s[18:19]
	s_andn2_b64 exec, exec, s[18:19]
	s_cbranch_execz .LBB13_441
.LBB13_438:                             ; =>This Inner Loop Header: Depth=1
	v_sub_u32_e32 v18, v13, v17
	v_lshrrev_b32_e32 v18, 1, v18
	v_add_u32_e32 v18, v18, v17
	v_lshl_add_u32 v19, v18, 3, v14
	v_not_b32_e32 v20, v18
	v_lshl_add_u32 v20, v20, 3, v15
	ds_read_b32 v21, v19
	ds_read_b32 v22, v20
	s_or_b64 s[20:21], s[20:21], exec
	s_waitcnt lgkmcnt(0)
	v_cmp_nlt_f32_e64 s[14:15], v22, v21
	s_and_saveexec_b64 s[22:23], s[14:15]
	s_cbranch_execz .LBB13_437
; %bb.439:                              ;   in Loop: Header=BB13_438 Depth=1
	v_cmp_eq_f32_e64 s[14:15], v22, v21
	s_mov_b64 s[24:25], 0
	s_and_saveexec_b64 s[26:27], s[14:15]
	s_cbranch_execz .LBB13_436
; %bb.440:                              ;   in Loop: Header=BB13_438 Depth=1
	ds_read_b32 v20, v20 offset:4
	ds_read_b32 v19, v19 offset:4
	s_waitcnt lgkmcnt(0)
	v_cmp_lt_f32_e64 s[14:15], v20, v19
	s_and_b64 s[24:25], s[14:15], exec
	s_branch .LBB13_436
.LBB13_441:
	s_or_b64 exec, exec, s[18:19]
.LBB13_442:
	s_or_b64 exec, exec, s[16:17]
	v_add_u32_e32 v12, v46, v12
	v_sub_u32_e32 v51, v12, v17
	v_lshl_add_u32 v20, v51, 3, v47
	ds_read_b64 v[12:13], v20
	v_lshl_add_u32 v19, v17, 3, v14
	ds_read_b64 v[14:15], v19
	v_add_u32_e32 v52, v17, v16
	v_cmp_gt_i32_e64 s[14:15], v50, v51
	s_waitcnt lgkmcnt(1)
	v_mov_b32_e32 v16, v12
	v_mov_b32_e32 v17, v13
	s_mov_b64 s[18:19], 0
	s_and_saveexec_b64 s[20:21], s[14:15]
	s_cbranch_execz .LBB13_448
; %bb.443:
	v_cmp_gt_i32_e64 s[14:15], v46, v52
	s_waitcnt lgkmcnt(0)
	v_cmp_nlt_f32_e64 s[16:17], v12, v14
	s_and_b64 s[18:19], s[14:15], s[16:17]
	s_mov_b64 s[14:15], -1
	s_and_saveexec_b64 s[16:17], s[18:19]
	s_cbranch_execz .LBB13_447
; %bb.444:
	v_cmp_eq_f32_e64 s[14:15], v12, v14
	s_mov_b64 s[18:19], 0
	s_and_saveexec_b64 s[22:23], s[14:15]
; %bb.445:
	v_cmp_lt_f32_e64 s[14:15], v13, v15
	s_and_b64 s[18:19], s[14:15], exec
; %bb.446:
	s_or_b64 exec, exec, s[22:23]
	s_orn2_b64 s[14:15], s[18:19], exec
.LBB13_447:
	s_or_b64 exec, exec, s[16:17]
	s_and_b64 s[18:19], s[14:15], exec
.LBB13_448:
	s_or_b64 exec, exec, s[20:21]
	s_xor_b64 s[14:15], s[18:19], -1
                                        ; implicit-def: $vgpr18
	s_and_saveexec_b64 s[16:17], s[14:15]
	s_xor_b64 s[14:15], exec, s[16:17]
; %bb.449:
	ds_read_b64 v[18:19], v19 offset:8
                                        ; implicit-def: $vgpr20
; %bb.450:
	s_andn2_saveexec_b64 s[14:15], s[14:15]
	s_cbranch_execz .LBB13_452
; %bb.451:
	ds_read_b64 v[16:17], v20 offset:8
	s_waitcnt lgkmcnt(1)
	v_mov_b32_e32 v19, v15
	v_mov_b32_e32 v18, v14
.LBB13_452:
	s_or_b64 exec, exec, s[14:15]
	v_add_u32_e32 v20, 1, v51
	v_add_u32_e32 v21, 1, v52
	v_cndmask_b32_e64 v53, v51, v20, s[18:19]
	v_cndmask_b32_e64 v54, v21, v52, s[18:19]
	v_cmp_lt_i32_e64 s[14:15], v53, v50
	s_mov_b64 s[20:21], 0
	s_and_saveexec_b64 s[22:23], s[14:15]
	s_cbranch_execz .LBB13_458
; %bb.453:
	v_cmp_lt_i32_e64 s[14:15], v54, v46
	s_waitcnt lgkmcnt(0)
	v_cmp_nlt_f32_e64 s[16:17], v16, v18
	s_and_b64 s[20:21], s[14:15], s[16:17]
	s_mov_b64 s[14:15], -1
	s_and_saveexec_b64 s[16:17], s[20:21]
	s_cbranch_execz .LBB13_457
; %bb.454:
	v_cmp_eq_f32_e64 s[14:15], v16, v18
	s_mov_b64 s[20:21], 0
	s_and_saveexec_b64 s[24:25], s[14:15]
; %bb.455:
	v_cmp_lt_f32_e64 s[14:15], v17, v19
	s_and_b64 s[20:21], s[14:15], exec
; %bb.456:
	s_or_b64 exec, exec, s[24:25]
	s_orn2_b64 s[14:15], s[20:21], exec
.LBB13_457:
	s_or_b64 exec, exec, s[16:17]
	s_and_b64 s[20:21], s[14:15], exec
.LBB13_458:
	s_or_b64 exec, exec, s[22:23]
	s_xor_b64 s[14:15], s[20:21], -1
                                        ; implicit-def: $vgpr20
	s_and_saveexec_b64 s[16:17], s[14:15]
	s_xor_b64 s[14:15], exec, s[16:17]
; %bb.459:
	v_lshl_add_u32 v20, v54, 3, v47
	ds_read_b64 v[20:21], v20 offset:8
; %bb.460:
	s_or_saveexec_b64 s[14:15], s[14:15]
	s_waitcnt lgkmcnt(0)
	v_mov_b32_e32 v22, v16
	v_mov_b32_e32 v23, v17
	s_xor_b64 exec, exec, s[14:15]
; %bb.461:
	v_lshl_add_u32 v20, v53, 3, v47
	ds_read_b64 v[22:23], v20 offset:8
	v_mov_b32_e32 v21, v19
	v_mov_b32_e32 v20, v18
; %bb.462:
	s_or_b64 exec, exec, s[14:15]
	v_add_u32_e32 v24, 1, v53
	v_add_u32_e32 v25, 1, v54
	v_cndmask_b32_e64 v55, v53, v24, s[20:21]
	v_cndmask_b32_e64 v56, v25, v54, s[20:21]
	v_cmp_lt_i32_e64 s[14:15], v55, v50
	s_mov_b64 s[22:23], 0
	s_and_saveexec_b64 s[24:25], s[14:15]
	s_cbranch_execz .LBB13_468
; %bb.463:
	v_cmp_lt_i32_e64 s[14:15], v56, v46
	s_waitcnt lgkmcnt(0)
	v_cmp_nlt_f32_e64 s[16:17], v22, v20
	s_and_b64 s[22:23], s[14:15], s[16:17]
	s_mov_b64 s[14:15], -1
	s_and_saveexec_b64 s[16:17], s[22:23]
	s_cbranch_execz .LBB13_467
; %bb.464:
	v_cmp_eq_f32_e64 s[14:15], v22, v20
	s_mov_b64 s[22:23], 0
	s_and_saveexec_b64 s[26:27], s[14:15]
; %bb.465:
	v_cmp_lt_f32_e64 s[14:15], v23, v21
	s_and_b64 s[22:23], s[14:15], exec
; %bb.466:
	s_or_b64 exec, exec, s[26:27]
	s_orn2_b64 s[14:15], s[22:23], exec
.LBB13_467:
	s_or_b64 exec, exec, s[16:17]
	s_and_b64 s[22:23], s[14:15], exec
.LBB13_468:
	s_or_b64 exec, exec, s[24:25]
	s_xor_b64 s[14:15], s[22:23], -1
                                        ; implicit-def: $vgpr24
	s_and_saveexec_b64 s[16:17], s[14:15]
	s_xor_b64 s[14:15], exec, s[16:17]
; %bb.469:
	v_lshl_add_u32 v24, v56, 3, v47
	ds_read_b64 v[24:25], v24 offset:8
; %bb.470:
	s_or_saveexec_b64 s[14:15], s[14:15]
	s_waitcnt lgkmcnt(0)
	v_mov_b32_e32 v26, v22
	v_mov_b32_e32 v27, v23
	s_xor_b64 exec, exec, s[14:15]
; %bb.471:
	v_lshl_add_u32 v24, v55, 3, v47
	ds_read_b64 v[26:27], v24 offset:8
	v_mov_b32_e32 v25, v21
	v_mov_b32_e32 v24, v20
; %bb.472:
	s_or_b64 exec, exec, s[14:15]
	v_add_u32_e32 v28, 1, v55
	v_add_u32_e32 v29, 1, v56
	v_cndmask_b32_e64 v57, v55, v28, s[22:23]
	v_cndmask_b32_e64 v58, v29, v56, s[22:23]
	v_cmp_lt_i32_e64 s[14:15], v57, v50
	s_mov_b64 s[24:25], 0
	s_and_saveexec_b64 s[26:27], s[14:15]
	s_cbranch_execz .LBB13_478
; %bb.473:
	v_cmp_lt_i32_e64 s[14:15], v58, v46
	s_waitcnt lgkmcnt(0)
	v_cmp_nlt_f32_e64 s[16:17], v26, v24
	s_and_b64 s[24:25], s[14:15], s[16:17]
	s_mov_b64 s[14:15], -1
	s_and_saveexec_b64 s[16:17], s[24:25]
	s_cbranch_execz .LBB13_477
; %bb.474:
	v_cmp_eq_f32_e64 s[14:15], v26, v24
	s_mov_b64 s[24:25], 0
	s_and_saveexec_b64 s[28:29], s[14:15]
; %bb.475:
	v_cmp_lt_f32_e64 s[14:15], v27, v25
	s_and_b64 s[24:25], s[14:15], exec
; %bb.476:
	s_or_b64 exec, exec, s[28:29]
	s_orn2_b64 s[14:15], s[24:25], exec
.LBB13_477:
	s_or_b64 exec, exec, s[16:17]
	s_and_b64 s[24:25], s[14:15], exec
.LBB13_478:
	s_or_b64 exec, exec, s[26:27]
	s_xor_b64 s[14:15], s[24:25], -1
                                        ; implicit-def: $vgpr28
	s_and_saveexec_b64 s[16:17], s[14:15]
	s_xor_b64 s[14:15], exec, s[16:17]
; %bb.479:
	v_lshl_add_u32 v28, v58, 3, v47
	ds_read_b64 v[28:29], v28 offset:8
; %bb.480:
	s_or_saveexec_b64 s[14:15], s[14:15]
	s_waitcnt lgkmcnt(0)
	v_mov_b32_e32 v30, v26
	v_mov_b32_e32 v31, v27
	s_xor_b64 exec, exec, s[14:15]
; %bb.481:
	v_lshl_add_u32 v28, v57, 3, v47
	ds_read_b64 v[30:31], v28 offset:8
	v_mov_b32_e32 v29, v25
	v_mov_b32_e32 v28, v24
; %bb.482:
	s_or_b64 exec, exec, s[14:15]
	v_add_u32_e32 v32, 1, v57
	v_add_u32_e32 v33, 1, v58
	v_cndmask_b32_e64 v59, v57, v32, s[24:25]
	v_cndmask_b32_e64 v60, v33, v58, s[24:25]
	v_cmp_lt_i32_e64 s[14:15], v59, v50
	s_mov_b64 s[26:27], 0
	s_and_saveexec_b64 s[28:29], s[14:15]
	s_cbranch_execz .LBB13_488
; %bb.483:
	v_cmp_lt_i32_e64 s[14:15], v60, v46
	s_waitcnt lgkmcnt(0)
	v_cmp_nlt_f32_e64 s[16:17], v30, v28
	s_and_b64 s[26:27], s[14:15], s[16:17]
	s_mov_b64 s[14:15], -1
	s_and_saveexec_b64 s[16:17], s[26:27]
	s_cbranch_execz .LBB13_487
; %bb.484:
	v_cmp_eq_f32_e64 s[14:15], v30, v28
	s_mov_b64 s[26:27], 0
	s_and_saveexec_b64 s[30:31], s[14:15]
; %bb.485:
	v_cmp_lt_f32_e64 s[14:15], v31, v29
	s_and_b64 s[26:27], s[14:15], exec
; %bb.486:
	s_or_b64 exec, exec, s[30:31]
	s_orn2_b64 s[14:15], s[26:27], exec
.LBB13_487:
	s_or_b64 exec, exec, s[16:17]
	s_and_b64 s[26:27], s[14:15], exec
.LBB13_488:
	s_or_b64 exec, exec, s[28:29]
	s_xor_b64 s[14:15], s[26:27], -1
                                        ; implicit-def: $vgpr32
	s_and_saveexec_b64 s[16:17], s[14:15]
	s_xor_b64 s[14:15], exec, s[16:17]
; %bb.489:
	v_lshl_add_u32 v32, v60, 3, v47
	ds_read_b64 v[32:33], v32 offset:8
; %bb.490:
	s_or_saveexec_b64 s[14:15], s[14:15]
	s_waitcnt lgkmcnt(0)
	v_mov_b32_e32 v34, v30
	v_mov_b32_e32 v35, v31
	s_xor_b64 exec, exec, s[14:15]
; %bb.491:
	v_lshl_add_u32 v32, v59, 3, v47
	ds_read_b64 v[34:35], v32 offset:8
	v_mov_b32_e32 v33, v29
	v_mov_b32_e32 v32, v28
; %bb.492:
	s_or_b64 exec, exec, s[14:15]
	v_add_u32_e32 v36, 1, v59
	v_add_u32_e32 v37, 1, v60
	v_cndmask_b32_e64 v61, v59, v36, s[26:27]
	v_cndmask_b32_e64 v62, v37, v60, s[26:27]
	v_cmp_lt_i32_e64 s[14:15], v61, v50
	s_mov_b64 s[28:29], 0
	s_and_saveexec_b64 s[30:31], s[14:15]
	s_cbranch_execz .LBB13_498
; %bb.493:
	v_cmp_lt_i32_e64 s[14:15], v62, v46
	s_waitcnt lgkmcnt(0)
	v_cmp_nlt_f32_e64 s[16:17], v34, v32
	s_and_b64 s[28:29], s[14:15], s[16:17]
	s_mov_b64 s[14:15], -1
	s_and_saveexec_b64 s[16:17], s[28:29]
	s_cbranch_execz .LBB13_497
; %bb.494:
	v_cmp_eq_f32_e64 s[14:15], v34, v32
	s_mov_b64 s[28:29], 0
	s_and_saveexec_b64 s[34:35], s[14:15]
; %bb.495:
	v_cmp_lt_f32_e64 s[14:15], v35, v33
	s_and_b64 s[28:29], s[14:15], exec
; %bb.496:
	s_or_b64 exec, exec, s[34:35]
	s_orn2_b64 s[14:15], s[28:29], exec
.LBB13_497:
	s_or_b64 exec, exec, s[16:17]
	s_and_b64 s[28:29], s[14:15], exec
.LBB13_498:
	s_or_b64 exec, exec, s[30:31]
	s_xor_b64 s[14:15], s[28:29], -1
                                        ; implicit-def: $vgpr36
	s_and_saveexec_b64 s[16:17], s[14:15]
	s_xor_b64 s[14:15], exec, s[16:17]
; %bb.499:
	v_lshl_add_u32 v36, v62, 3, v47
	ds_read_b64 v[36:37], v36 offset:8
; %bb.500:
	s_or_saveexec_b64 s[14:15], s[14:15]
	s_waitcnt lgkmcnt(0)
	v_mov_b32_e32 v38, v34
	v_mov_b32_e32 v39, v35
	s_xor_b64 exec, exec, s[14:15]
; %bb.501:
	v_lshl_add_u32 v36, v61, 3, v47
	ds_read_b64 v[38:39], v36 offset:8
	v_mov_b32_e32 v37, v33
	v_mov_b32_e32 v36, v32
; %bb.502:
	s_or_b64 exec, exec, s[14:15]
	v_add_u32_e32 v40, 1, v61
	v_add_u32_e32 v41, 1, v62
	v_cndmask_b32_e64 v63, v61, v40, s[28:29]
	v_cndmask_b32_e64 v64, v41, v62, s[28:29]
	v_cmp_lt_i32_e64 s[14:15], v63, v50
	s_mov_b64 s[30:31], 0
	s_and_saveexec_b64 s[34:35], s[14:15]
	s_cbranch_execz .LBB13_508
; %bb.503:
	v_cmp_lt_i32_e64 s[14:15], v64, v46
	s_waitcnt lgkmcnt(0)
	v_cmp_nlt_f32_e64 s[16:17], v38, v36
	s_and_b64 s[30:31], s[14:15], s[16:17]
	s_mov_b64 s[14:15], -1
	s_and_saveexec_b64 s[16:17], s[30:31]
	s_cbranch_execz .LBB13_507
; %bb.504:
	v_cmp_eq_f32_e64 s[14:15], v38, v36
	s_mov_b64 s[30:31], 0
	s_and_saveexec_b64 s[36:37], s[14:15]
; %bb.505:
	v_cmp_lt_f32_e64 s[14:15], v39, v37
	s_and_b64 s[30:31], s[14:15], exec
; %bb.506:
	s_or_b64 exec, exec, s[36:37]
	s_orn2_b64 s[14:15], s[30:31], exec
.LBB13_507:
	s_or_b64 exec, exec, s[16:17]
	s_and_b64 s[30:31], s[14:15], exec
.LBB13_508:
	s_or_b64 exec, exec, s[34:35]
	s_xor_b64 s[14:15], s[30:31], -1
                                        ; implicit-def: $vgpr40
	s_and_saveexec_b64 s[16:17], s[14:15]
	s_xor_b64 s[14:15], exec, s[16:17]
; %bb.509:
	v_lshl_add_u32 v40, v64, 3, v47
	ds_read_b64 v[40:41], v40 offset:8
; %bb.510:
	s_or_saveexec_b64 s[14:15], s[14:15]
	s_waitcnt lgkmcnt(0)
	v_mov_b32_e32 v42, v38
	v_mov_b32_e32 v43, v39
	s_xor_b64 exec, exec, s[14:15]
; %bb.511:
	v_lshl_add_u32 v40, v63, 3, v47
	ds_read_b64 v[42:43], v40 offset:8
	v_mov_b32_e32 v41, v37
	v_mov_b32_e32 v40, v36
; %bb.512:
	s_or_b64 exec, exec, s[14:15]
	v_add_u32_e32 v65, 1, v63
	v_add_u32_e32 v66, 1, v64
	v_cndmask_b32_e64 v65, v63, v65, s[30:31]
	v_cndmask_b32_e64 v66, v66, v64, s[30:31]
	v_cmp_lt_i32_e64 s[14:15], v65, v50
	s_mov_b64 s[16:17], 0
	s_and_saveexec_b64 s[34:35], s[14:15]
	s_cbranch_execz .LBB13_518
; %bb.513:
	v_cmp_lt_i32_e64 s[14:15], v66, v46
	s_waitcnt lgkmcnt(0)
	v_cmp_nlt_f32_e64 s[16:17], v42, v40
	s_and_b64 s[36:37], s[14:15], s[16:17]
	s_mov_b64 s[14:15], -1
	s_and_saveexec_b64 s[16:17], s[36:37]
	s_cbranch_execz .LBB13_517
; %bb.514:
	v_cmp_eq_f32_e64 s[14:15], v42, v40
	s_mov_b64 s[36:37], 0
	s_and_saveexec_b64 s[38:39], s[14:15]
; %bb.515:
	v_cmp_lt_f32_e64 s[14:15], v43, v41
	s_and_b64 s[36:37], s[14:15], exec
; %bb.516:
	s_or_b64 exec, exec, s[38:39]
	s_orn2_b64 s[14:15], s[36:37], exec
.LBB13_517:
	s_or_b64 exec, exec, s[16:17]
	s_and_b64 s[16:17], s[14:15], exec
.LBB13_518:
	s_or_b64 exec, exec, s[34:35]
	v_cndmask_b32_e64 v24, v24, v26, s[24:25]
	v_cndmask_b32_e64 v26, v58, v57, s[24:25]
	;; [unrolled: 1-line block ×16, first 2 shown]
	; wave barrier
	ds_write2_b64 v49, v[6:7], v[10:11] offset1:1
	ds_write2_b64 v49, v[4:5], v[8:9] offset0:2 offset1:3
	v_lshl_add_u32 v4, v19, 2, v47
	v_lshl_add_u32 v5, v18, 2, v47
	;; [unrolled: 1-line block ×4, first 2 shown]
	; wave barrier
	v_lshl_add_u32 v18, v30, 2, v47
	v_lshl_add_u32 v19, v34, 2, v47
	;; [unrolled: 1-line block ×4, first 2 shown]
	ds_read_b32 v6, v4
	ds_read_b32 v7, v5
	;; [unrolled: 1-line block ×8, first 2 shown]
	v_cndmask_b32_e64 v12, v14, v12, s[18:19]
	v_cndmask_b32_e64 v13, v15, v13, s[18:19]
	;; [unrolled: 1-line block ×6, first 2 shown]
	s_waitcnt lgkmcnt(10)
	v_cndmask_b32_e64 v14, v40, v42, s[16:17]
	v_cndmask_b32_e64 v15, v41, v43, s[16:17]
	; wave barrier
	ds_write2_b64 v48, v[12:13], v[16:17] offset1:1
	ds_write2_b64 v48, v[20:21], v[24:25] offset0:2 offset1:3
	ds_write2_b64 v48, v[28:29], v[32:33] offset0:4 offset1:5
	;; [unrolled: 1-line block ×3, first 2 shown]
	v_min_i32_e32 v12, 0, v44
	v_add_u32_e32 v14, 0x80, v12
	v_min_i32_e32 v13, v44, v45
	v_min_i32_e32 v45, v44, v14
	v_add_u32_e32 v14, 0x80, v45
	v_min_i32_e32 v44, v44, v14
	v_sub_u32_e32 v15, v44, v45
	v_sub_u32_e32 v14, v45, v12
	;; [unrolled: 1-line block ×3, first 2 shown]
	v_cmp_ge_i32_e64 s[14:15], v13, v15
	v_cndmask_b32_e64 v18, 0, v17, s[14:15]
	v_min_i32_e32 v14, v13, v14
	v_lshl_add_u32 v16, v12, 3, v47
	v_cmp_lt_i32_e64 s[14:15], v18, v14
	; wave barrier
	s_and_saveexec_b64 s[16:17], s[14:15]
	s_cbranch_execz .LBB13_526
; %bb.519:
	v_lshlrev_b32_e32 v15, 3, v45
	v_lshlrev_b32_e32 v17, 3, v13
	v_add3_u32 v15, v47, v15, v17
	s_mov_b64 s[18:19], 0
                                        ; implicit-def: $sgpr20_sgpr21
	s_branch .LBB13_522
.LBB13_520:                             ;   in Loop: Header=BB13_522 Depth=1
	s_or_b64 exec, exec, s[26:27]
	s_andn2_b64 s[14:15], s[20:21], exec
	s_and_b64 s[20:21], s[24:25], exec
	s_or_b64 s[20:21], s[14:15], s[20:21]
.LBB13_521:                             ;   in Loop: Header=BB13_522 Depth=1
	s_or_b64 exec, exec, s[22:23]
	v_add_u32_e32 v19, 1, v17
	v_cndmask_b32_e64 v14, v14, v17, s[20:21]
	v_cndmask_b32_e64 v18, v19, v18, s[20:21]
	v_cmp_ge_i32_e64 s[14:15], v18, v14
	s_or_b64 s[18:19], s[14:15], s[18:19]
	s_andn2_b64 exec, exec, s[18:19]
	s_cbranch_execz .LBB13_525
.LBB13_522:                             ; =>This Inner Loop Header: Depth=1
	v_sub_u32_e32 v17, v14, v18
	v_lshrrev_b32_e32 v17, 1, v17
	v_add_u32_e32 v17, v17, v18
	v_lshl_add_u32 v19, v17, 3, v16
	v_not_b32_e32 v20, v17
	v_lshl_add_u32 v20, v20, 3, v15
	ds_read_b32 v21, v19
	ds_read_b32 v22, v20
	s_or_b64 s[20:21], s[20:21], exec
	s_waitcnt lgkmcnt(0)
	v_cmp_nlt_f32_e64 s[14:15], v22, v21
	s_and_saveexec_b64 s[22:23], s[14:15]
	s_cbranch_execz .LBB13_521
; %bb.523:                              ;   in Loop: Header=BB13_522 Depth=1
	v_cmp_eq_f32_e64 s[14:15], v22, v21
	s_mov_b64 s[24:25], 0
	s_and_saveexec_b64 s[26:27], s[14:15]
	s_cbranch_execz .LBB13_520
; %bb.524:                              ;   in Loop: Header=BB13_522 Depth=1
	ds_read_b32 v20, v20 offset:4
	ds_read_b32 v19, v19 offset:4
	s_waitcnt lgkmcnt(0)
	v_cmp_lt_f32_e64 s[14:15], v20, v19
	s_and_b64 s[24:25], s[14:15], exec
	s_branch .LBB13_520
.LBB13_525:
	s_or_b64 exec, exec, s[18:19]
.LBB13_526:
	s_or_b64 exec, exec, s[16:17]
	v_add_u32_e32 v13, v13, v45
	v_sub_u32_e32 v46, v13, v18
	v_lshl_add_u32 v20, v46, 3, v47
	ds_read_b64 v[14:15], v20
	v_lshl_add_u32 v19, v18, 3, v16
	ds_read_b64 v[16:17], v19
	v_add_u32_e32 v48, v18, v12
	v_cmp_gt_i32_e64 s[14:15], v44, v46
	s_waitcnt lgkmcnt(1)
	v_mov_b32_e32 v12, v14
	v_mov_b32_e32 v13, v15
	s_mov_b64 s[18:19], 0
	s_and_saveexec_b64 s[20:21], s[14:15]
	s_cbranch_execz .LBB13_532
; %bb.527:
	v_cmp_gt_i32_e64 s[14:15], v45, v48
	s_waitcnt lgkmcnt(0)
	v_cmp_nlt_f32_e64 s[16:17], v14, v16
	s_and_b64 s[18:19], s[14:15], s[16:17]
	s_mov_b64 s[14:15], -1
	s_and_saveexec_b64 s[16:17], s[18:19]
	s_cbranch_execz .LBB13_531
; %bb.528:
	v_cmp_eq_f32_e64 s[14:15], v14, v16
	s_mov_b64 s[18:19], 0
	s_and_saveexec_b64 s[22:23], s[14:15]
; %bb.529:
	v_cmp_lt_f32_e64 s[14:15], v15, v17
	s_and_b64 s[18:19], s[14:15], exec
; %bb.530:
	s_or_b64 exec, exec, s[22:23]
	s_orn2_b64 s[14:15], s[18:19], exec
.LBB13_531:
	s_or_b64 exec, exec, s[16:17]
	s_and_b64 s[18:19], s[14:15], exec
.LBB13_532:
	s_or_b64 exec, exec, s[20:21]
	s_xor_b64 s[14:15], s[18:19], -1
                                        ; implicit-def: $vgpr18
	s_and_saveexec_b64 s[16:17], s[14:15]
	s_xor_b64 s[14:15], exec, s[16:17]
; %bb.533:
	ds_read_b64 v[18:19], v19 offset:8
                                        ; implicit-def: $vgpr20
; %bb.534:
	s_andn2_saveexec_b64 s[14:15], s[14:15]
	s_cbranch_execz .LBB13_536
; %bb.535:
	ds_read_b64 v[12:13], v20 offset:8
	s_waitcnt lgkmcnt(1)
	v_mov_b32_e32 v19, v17
	v_mov_b32_e32 v18, v16
.LBB13_536:
	s_or_b64 exec, exec, s[14:15]
	v_add_u32_e32 v20, 1, v46
	v_add_u32_e32 v21, 1, v48
	v_cndmask_b32_e64 v50, v46, v20, s[18:19]
	v_cndmask_b32_e64 v51, v21, v48, s[18:19]
	v_cmp_lt_i32_e64 s[14:15], v50, v44
	s_mov_b64 s[20:21], 0
	s_and_saveexec_b64 s[22:23], s[14:15]
	s_cbranch_execz .LBB13_542
; %bb.537:
	v_cmp_lt_i32_e64 s[14:15], v51, v45
	s_waitcnt lgkmcnt(0)
	v_cmp_nlt_f32_e64 s[16:17], v12, v18
	s_and_b64 s[20:21], s[14:15], s[16:17]
	s_mov_b64 s[14:15], -1
	s_and_saveexec_b64 s[16:17], s[20:21]
	s_cbranch_execz .LBB13_541
; %bb.538:
	v_cmp_eq_f32_e64 s[14:15], v12, v18
	s_mov_b64 s[20:21], 0
	s_and_saveexec_b64 s[24:25], s[14:15]
; %bb.539:
	v_cmp_lt_f32_e64 s[14:15], v13, v19
	s_and_b64 s[20:21], s[14:15], exec
; %bb.540:
	s_or_b64 exec, exec, s[24:25]
	s_orn2_b64 s[14:15], s[20:21], exec
.LBB13_541:
	s_or_b64 exec, exec, s[16:17]
	s_and_b64 s[20:21], s[14:15], exec
.LBB13_542:
	s_or_b64 exec, exec, s[22:23]
	s_xor_b64 s[14:15], s[20:21], -1
                                        ; implicit-def: $vgpr20
	s_and_saveexec_b64 s[16:17], s[14:15]
	s_xor_b64 s[14:15], exec, s[16:17]
; %bb.543:
	v_lshl_add_u32 v20, v51, 3, v47
	ds_read_b64 v[20:21], v20 offset:8
; %bb.544:
	s_or_saveexec_b64 s[14:15], s[14:15]
	s_waitcnt lgkmcnt(0)
	v_mov_b32_e32 v22, v12
	v_mov_b32_e32 v23, v13
	s_xor_b64 exec, exec, s[14:15]
; %bb.545:
	v_lshl_add_u32 v20, v50, 3, v47
	ds_read_b64 v[22:23], v20 offset:8
	v_mov_b32_e32 v21, v19
	v_mov_b32_e32 v20, v18
; %bb.546:
	s_or_b64 exec, exec, s[14:15]
	v_add_u32_e32 v24, 1, v50
	v_add_u32_e32 v25, 1, v51
	v_cndmask_b32_e64 v52, v50, v24, s[20:21]
	v_cndmask_b32_e64 v53, v25, v51, s[20:21]
	v_cmp_lt_i32_e64 s[14:15], v52, v44
	s_mov_b64 s[22:23], 0
	s_and_saveexec_b64 s[24:25], s[14:15]
	s_cbranch_execz .LBB13_552
; %bb.547:
	v_cmp_lt_i32_e64 s[14:15], v53, v45
	s_waitcnt lgkmcnt(0)
	v_cmp_nlt_f32_e64 s[16:17], v22, v20
	s_and_b64 s[22:23], s[14:15], s[16:17]
	s_mov_b64 s[14:15], -1
	s_and_saveexec_b64 s[16:17], s[22:23]
	s_cbranch_execz .LBB13_551
; %bb.548:
	v_cmp_eq_f32_e64 s[14:15], v22, v20
	s_mov_b64 s[22:23], 0
	s_and_saveexec_b64 s[26:27], s[14:15]
; %bb.549:
	v_cmp_lt_f32_e64 s[14:15], v23, v21
	s_and_b64 s[22:23], s[14:15], exec
; %bb.550:
	s_or_b64 exec, exec, s[26:27]
	s_orn2_b64 s[14:15], s[22:23], exec
.LBB13_551:
	s_or_b64 exec, exec, s[16:17]
	s_and_b64 s[22:23], s[14:15], exec
.LBB13_552:
	s_or_b64 exec, exec, s[24:25]
	s_xor_b64 s[14:15], s[22:23], -1
                                        ; implicit-def: $vgpr24
	s_and_saveexec_b64 s[16:17], s[14:15]
	s_xor_b64 s[14:15], exec, s[16:17]
; %bb.553:
	v_lshl_add_u32 v24, v53, 3, v47
	ds_read_b64 v[24:25], v24 offset:8
; %bb.554:
	s_or_saveexec_b64 s[14:15], s[14:15]
	s_waitcnt lgkmcnt(0)
	v_mov_b32_e32 v26, v22
	v_mov_b32_e32 v27, v23
	s_xor_b64 exec, exec, s[14:15]
; %bb.555:
	v_lshl_add_u32 v24, v52, 3, v47
	ds_read_b64 v[26:27], v24 offset:8
	v_mov_b32_e32 v25, v21
	v_mov_b32_e32 v24, v20
; %bb.556:
	s_or_b64 exec, exec, s[14:15]
	v_add_u32_e32 v28, 1, v52
	v_add_u32_e32 v29, 1, v53
	v_cndmask_b32_e64 v54, v52, v28, s[22:23]
	v_cndmask_b32_e64 v55, v29, v53, s[22:23]
	v_cmp_lt_i32_e64 s[14:15], v54, v44
	s_mov_b64 s[24:25], 0
	s_and_saveexec_b64 s[26:27], s[14:15]
	s_cbranch_execz .LBB13_562
; %bb.557:
	v_cmp_lt_i32_e64 s[14:15], v55, v45
	s_waitcnt lgkmcnt(0)
	v_cmp_nlt_f32_e64 s[16:17], v26, v24
	s_and_b64 s[24:25], s[14:15], s[16:17]
	s_mov_b64 s[14:15], -1
	s_and_saveexec_b64 s[16:17], s[24:25]
	s_cbranch_execz .LBB13_561
; %bb.558:
	v_cmp_eq_f32_e64 s[14:15], v26, v24
	s_mov_b64 s[24:25], 0
	s_and_saveexec_b64 s[28:29], s[14:15]
; %bb.559:
	v_cmp_lt_f32_e64 s[14:15], v27, v25
	s_and_b64 s[24:25], s[14:15], exec
; %bb.560:
	s_or_b64 exec, exec, s[28:29]
	s_orn2_b64 s[14:15], s[24:25], exec
.LBB13_561:
	s_or_b64 exec, exec, s[16:17]
	s_and_b64 s[24:25], s[14:15], exec
.LBB13_562:
	s_or_b64 exec, exec, s[26:27]
	s_xor_b64 s[14:15], s[24:25], -1
                                        ; implicit-def: $vgpr28
	s_and_saveexec_b64 s[16:17], s[14:15]
	s_xor_b64 s[14:15], exec, s[16:17]
; %bb.563:
	v_lshl_add_u32 v28, v55, 3, v47
	ds_read_b64 v[28:29], v28 offset:8
; %bb.564:
	s_or_saveexec_b64 s[14:15], s[14:15]
	s_waitcnt lgkmcnt(0)
	v_mov_b32_e32 v30, v26
	v_mov_b32_e32 v31, v27
	s_xor_b64 exec, exec, s[14:15]
; %bb.565:
	v_lshl_add_u32 v28, v54, 3, v47
	ds_read_b64 v[30:31], v28 offset:8
	v_mov_b32_e32 v29, v25
	v_mov_b32_e32 v28, v24
; %bb.566:
	s_or_b64 exec, exec, s[14:15]
	v_add_u32_e32 v32, 1, v54
	v_add_u32_e32 v33, 1, v55
	v_cndmask_b32_e64 v56, v54, v32, s[24:25]
	v_cndmask_b32_e64 v57, v33, v55, s[24:25]
	v_cmp_lt_i32_e64 s[14:15], v56, v44
	s_mov_b64 s[26:27], 0
	s_and_saveexec_b64 s[28:29], s[14:15]
	s_cbranch_execz .LBB13_572
; %bb.567:
	v_cmp_lt_i32_e64 s[14:15], v57, v45
	s_waitcnt lgkmcnt(0)
	v_cmp_nlt_f32_e64 s[16:17], v30, v28
	s_and_b64 s[26:27], s[14:15], s[16:17]
	s_mov_b64 s[14:15], -1
	s_and_saveexec_b64 s[16:17], s[26:27]
	s_cbranch_execz .LBB13_571
; %bb.568:
	v_cmp_eq_f32_e64 s[14:15], v30, v28
	s_mov_b64 s[26:27], 0
	s_and_saveexec_b64 s[30:31], s[14:15]
; %bb.569:
	v_cmp_lt_f32_e64 s[14:15], v31, v29
	s_and_b64 s[26:27], s[14:15], exec
; %bb.570:
	s_or_b64 exec, exec, s[30:31]
	s_orn2_b64 s[14:15], s[26:27], exec
.LBB13_571:
	s_or_b64 exec, exec, s[16:17]
	s_and_b64 s[26:27], s[14:15], exec
.LBB13_572:
	s_or_b64 exec, exec, s[28:29]
	s_xor_b64 s[14:15], s[26:27], -1
                                        ; implicit-def: $vgpr32
	s_and_saveexec_b64 s[16:17], s[14:15]
	s_xor_b64 s[14:15], exec, s[16:17]
; %bb.573:
	v_lshl_add_u32 v32, v57, 3, v47
	ds_read_b64 v[32:33], v32 offset:8
; %bb.574:
	s_or_saveexec_b64 s[14:15], s[14:15]
	s_waitcnt lgkmcnt(0)
	v_mov_b32_e32 v34, v30
	v_mov_b32_e32 v35, v31
	s_xor_b64 exec, exec, s[14:15]
; %bb.575:
	v_lshl_add_u32 v32, v56, 3, v47
	ds_read_b64 v[34:35], v32 offset:8
	v_mov_b32_e32 v33, v29
	v_mov_b32_e32 v32, v28
; %bb.576:
	s_or_b64 exec, exec, s[14:15]
	v_add_u32_e32 v36, 1, v56
	v_add_u32_e32 v37, 1, v57
	v_cndmask_b32_e64 v58, v56, v36, s[26:27]
	v_cndmask_b32_e64 v59, v37, v57, s[26:27]
	v_cmp_lt_i32_e64 s[14:15], v58, v44
	s_mov_b64 s[28:29], 0
	s_and_saveexec_b64 s[30:31], s[14:15]
	s_cbranch_execz .LBB13_582
; %bb.577:
	v_cmp_lt_i32_e64 s[14:15], v59, v45
	s_waitcnt lgkmcnt(0)
	v_cmp_nlt_f32_e64 s[16:17], v34, v32
	s_and_b64 s[28:29], s[14:15], s[16:17]
	s_mov_b64 s[14:15], -1
	s_and_saveexec_b64 s[16:17], s[28:29]
	s_cbranch_execz .LBB13_581
; %bb.578:
	v_cmp_eq_f32_e64 s[14:15], v34, v32
	s_mov_b64 s[28:29], 0
	s_and_saveexec_b64 s[34:35], s[14:15]
; %bb.579:
	v_cmp_lt_f32_e64 s[14:15], v35, v33
	s_and_b64 s[28:29], s[14:15], exec
; %bb.580:
	s_or_b64 exec, exec, s[34:35]
	s_orn2_b64 s[14:15], s[28:29], exec
.LBB13_581:
	s_or_b64 exec, exec, s[16:17]
	s_and_b64 s[28:29], s[14:15], exec
.LBB13_582:
	s_or_b64 exec, exec, s[30:31]
	s_xor_b64 s[14:15], s[28:29], -1
                                        ; implicit-def: $vgpr36
	s_and_saveexec_b64 s[16:17], s[14:15]
	s_xor_b64 s[14:15], exec, s[16:17]
; %bb.583:
	v_lshl_add_u32 v36, v59, 3, v47
	ds_read_b64 v[36:37], v36 offset:8
; %bb.584:
	s_or_saveexec_b64 s[14:15], s[14:15]
	s_waitcnt lgkmcnt(0)
	v_mov_b32_e32 v38, v34
	v_mov_b32_e32 v39, v35
	s_xor_b64 exec, exec, s[14:15]
; %bb.585:
	v_lshl_add_u32 v36, v58, 3, v47
	ds_read_b64 v[38:39], v36 offset:8
	v_mov_b32_e32 v37, v33
	v_mov_b32_e32 v36, v32
; %bb.586:
	s_or_b64 exec, exec, s[14:15]
	v_add_u32_e32 v40, 1, v58
	v_add_u32_e32 v41, 1, v59
	v_cndmask_b32_e64 v60, v58, v40, s[28:29]
	v_cndmask_b32_e64 v61, v41, v59, s[28:29]
	v_cmp_lt_i32_e64 s[14:15], v60, v44
	s_mov_b64 s[30:31], 0
	s_and_saveexec_b64 s[34:35], s[14:15]
	s_cbranch_execz .LBB13_592
; %bb.587:
	v_cmp_lt_i32_e64 s[14:15], v61, v45
	s_waitcnt lgkmcnt(0)
	v_cmp_nlt_f32_e64 s[16:17], v38, v36
	s_and_b64 s[30:31], s[14:15], s[16:17]
	s_mov_b64 s[14:15], -1
	s_and_saveexec_b64 s[16:17], s[30:31]
	s_cbranch_execz .LBB13_591
; %bb.588:
	v_cmp_eq_f32_e64 s[14:15], v38, v36
	s_mov_b64 s[30:31], 0
	s_and_saveexec_b64 s[36:37], s[14:15]
; %bb.589:
	v_cmp_lt_f32_e64 s[14:15], v39, v37
	s_and_b64 s[30:31], s[14:15], exec
; %bb.590:
	s_or_b64 exec, exec, s[36:37]
	s_orn2_b64 s[14:15], s[30:31], exec
.LBB13_591:
	s_or_b64 exec, exec, s[16:17]
	s_and_b64 s[30:31], s[14:15], exec
.LBB13_592:
	s_or_b64 exec, exec, s[34:35]
	s_xor_b64 s[14:15], s[30:31], -1
                                        ; implicit-def: $vgpr40
	s_and_saveexec_b64 s[16:17], s[14:15]
	s_xor_b64 s[14:15], exec, s[16:17]
; %bb.593:
	v_lshl_add_u32 v40, v61, 3, v47
	ds_read_b64 v[40:41], v40 offset:8
; %bb.594:
	s_or_saveexec_b64 s[14:15], s[14:15]
	s_waitcnt lgkmcnt(0)
	v_mov_b32_e32 v42, v38
	v_mov_b32_e32 v43, v39
	s_xor_b64 exec, exec, s[14:15]
; %bb.595:
	v_lshl_add_u32 v40, v60, 3, v47
	ds_read_b64 v[42:43], v40 offset:8
	v_mov_b32_e32 v41, v37
	v_mov_b32_e32 v40, v36
; %bb.596:
	s_or_b64 exec, exec, s[14:15]
	v_add_u32_e32 v62, 1, v60
	v_add_u32_e32 v63, 1, v61
	v_cndmask_b32_e64 v62, v60, v62, s[30:31]
	v_cndmask_b32_e64 v63, v63, v61, s[30:31]
	v_cmp_lt_i32_e64 s[14:15], v62, v44
	s_mov_b64 s[16:17], 0
	s_and_saveexec_b64 s[34:35], s[14:15]
	s_cbranch_execz .LBB13_602
; %bb.597:
	v_cmp_lt_i32_e64 s[14:15], v63, v45
	s_waitcnt lgkmcnt(0)
	v_cmp_nlt_f32_e64 s[16:17], v42, v40
	s_and_b64 s[36:37], s[14:15], s[16:17]
	s_mov_b64 s[14:15], -1
	s_and_saveexec_b64 s[16:17], s[36:37]
	s_cbranch_execz .LBB13_601
; %bb.598:
	v_cmp_eq_f32_e64 s[14:15], v42, v40
	s_mov_b64 s[36:37], 0
	s_and_saveexec_b64 s[38:39], s[14:15]
; %bb.599:
	v_cmp_lt_f32_e64 s[14:15], v43, v41
	s_and_b64 s[36:37], s[14:15], exec
; %bb.600:
	s_or_b64 exec, exec, s[38:39]
	s_orn2_b64 s[14:15], s[36:37], exec
.LBB13_601:
	s_or_b64 exec, exec, s[16:17]
	s_and_b64 s[16:17], s[14:15], exec
.LBB13_602:
	s_or_b64 exec, exec, s[34:35]
	v_cndmask_b32_e64 v54, v55, v54, s[24:25]
	v_cndmask_b32_e64 v52, v53, v52, s[22:23]
	;; [unrolled: 1-line block ×8, first 2 shown]
	; wave barrier
	ds_write2_b64 v49, v[6:7], v[10:11] offset1:1
	ds_write2_b64 v49, v[4:5], v[8:9] offset0:2 offset1:3
	v_lshl_add_u32 v4, v46, 2, v47
	v_lshl_add_u32 v5, v50, 2, v47
	;; [unrolled: 1-line block ×4, first 2 shown]
	; wave barrier
	v_lshl_add_u32 v46, v56, 2, v47
	v_lshl_add_u32 v45, v45, 2, v47
	;; [unrolled: 1-line block ×4, first 2 shown]
	ds_read_b32 v11, v4
	ds_read_b32 v10, v5
	;; [unrolled: 1-line block ×8, first 2 shown]
	s_and_saveexec_b64 s[14:15], vcc
	s_cbranch_execnz .LBB13_619
; %bb.603:
	s_or_b64 exec, exec, s[14:15]
	s_and_saveexec_b64 s[14:15], s[0:1]
	s_cbranch_execnz .LBB13_620
.LBB13_604:
	s_or_b64 exec, exec, s[14:15]
	s_and_saveexec_b64 s[14:15], s[2:3]
	s_cbranch_execnz .LBB13_621
.LBB13_605:
	s_or_b64 exec, exec, s[14:15]
	s_and_saveexec_b64 s[14:15], s[4:5]
	s_cbranch_execnz .LBB13_622
.LBB13_606:
	s_or_b64 exec, exec, s[14:15]
	s_and_saveexec_b64 s[14:15], s[6:7]
	s_cbranch_execnz .LBB13_623
.LBB13_607:
	s_or_b64 exec, exec, s[14:15]
	s_and_saveexec_b64 s[14:15], s[8:9]
	s_cbranch_execnz .LBB13_624
.LBB13_608:
	s_or_b64 exec, exec, s[14:15]
	s_and_saveexec_b64 s[14:15], s[10:11]
	s_cbranch_execnz .LBB13_625
.LBB13_609:
	s_or_b64 exec, exec, s[14:15]
	s_and_saveexec_b64 s[14:15], s[12:13]
	s_cbranch_execnz .LBB13_626
.LBB13_610:
	s_or_b64 exec, exec, s[14:15]
	s_and_saveexec_b64 s[14:15], vcc
	s_cbranch_execnz .LBB13_627
.LBB13_611:
	s_or_b64 exec, exec, s[14:15]
	s_and_saveexec_b64 s[14:15], s[0:1]
	s_cbranch_execnz .LBB13_628
.LBB13_612:
	s_or_b64 exec, exec, s[14:15]
	s_and_saveexec_b64 s[0:1], s[2:3]
	s_cbranch_execnz .LBB13_629
.LBB13_613:
	s_or_b64 exec, exec, s[0:1]
	s_and_saveexec_b64 s[0:1], s[4:5]
	s_cbranch_execnz .LBB13_630
.LBB13_614:
	s_or_b64 exec, exec, s[0:1]
	s_and_saveexec_b64 s[0:1], s[6:7]
	s_cbranch_execnz .LBB13_631
.LBB13_615:
	s_or_b64 exec, exec, s[0:1]
	s_and_saveexec_b64 s[0:1], s[8:9]
	s_cbranch_execnz .LBB13_632
.LBB13_616:
	s_or_b64 exec, exec, s[0:1]
	s_and_saveexec_b64 s[0:1], s[10:11]
	s_cbranch_execnz .LBB13_633
.LBB13_617:
	s_or_b64 exec, exec, s[0:1]
	s_and_saveexec_b64 s[0:1], s[12:13]
	s_cbranch_execnz .LBB13_634
.LBB13_618:
	s_endpgm
.LBB13_619:
	v_cndmask_b32_e64 v14, v16, v14, s[18:19]
	v_cndmask_b32_e64 v15, v17, v15, s[18:19]
	global_store_dwordx2 v[0:1], v[14:15], off
	s_or_b64 exec, exec, s[14:15]
	s_and_saveexec_b64 s[14:15], s[0:1]
	s_cbranch_execz .LBB13_604
.LBB13_620:
	v_cndmask_b32_e64 v12, v18, v12, s[20:21]
	v_cndmask_b32_e64 v13, v19, v13, s[20:21]
	global_store_dwordx2 v[0:1], v[12:13], off offset:8
	s_or_b64 exec, exec, s[14:15]
	s_and_saveexec_b64 s[14:15], s[2:3]
	s_cbranch_execz .LBB13_605
.LBB13_621:
	v_cndmask_b32_e64 v12, v20, v22, s[22:23]
	v_cndmask_b32_e64 v13, v21, v23, s[22:23]
	global_store_dwordx2 v[0:1], v[12:13], off offset:16
	s_or_b64 exec, exec, s[14:15]
	s_and_saveexec_b64 s[14:15], s[4:5]
	s_cbranch_execz .LBB13_606
.LBB13_622:
	v_cndmask_b32_e64 v12, v24, v26, s[24:25]
	v_cndmask_b32_e64 v13, v25, v27, s[24:25]
	global_store_dwordx2 v[0:1], v[12:13], off offset:24
	s_or_b64 exec, exec, s[14:15]
	s_and_saveexec_b64 s[14:15], s[6:7]
	s_cbranch_execz .LBB13_607
.LBB13_623:
	v_cndmask_b32_e64 v12, v28, v30, s[26:27]
	v_cndmask_b32_e64 v13, v29, v31, s[26:27]
	global_store_dwordx2 v[0:1], v[12:13], off offset:32
	s_or_b64 exec, exec, s[14:15]
	s_and_saveexec_b64 s[14:15], s[8:9]
	s_cbranch_execz .LBB13_608
.LBB13_624:
	v_cndmask_b32_e64 v12, v32, v34, s[28:29]
	v_cndmask_b32_e64 v13, v33, v35, s[28:29]
	global_store_dwordx2 v[0:1], v[12:13], off offset:40
	s_or_b64 exec, exec, s[14:15]
	s_and_saveexec_b64 s[14:15], s[10:11]
	s_cbranch_execz .LBB13_609
.LBB13_625:
	v_cndmask_b32_e64 v12, v36, v38, s[30:31]
	v_cndmask_b32_e64 v13, v37, v39, s[30:31]
	global_store_dwordx2 v[0:1], v[12:13], off offset:48
	s_or_b64 exec, exec, s[14:15]
	s_and_saveexec_b64 s[14:15], s[12:13]
	s_cbranch_execz .LBB13_610
.LBB13_626:
	s_waitcnt lgkmcnt(10)
	v_cndmask_b32_e64 v12, v40, v42, s[16:17]
	v_cndmask_b32_e64 v13, v41, v43, s[16:17]
	global_store_dwordx2 v[0:1], v[12:13], off offset:56
	s_or_b64 exec, exec, s[14:15]
	s_and_saveexec_b64 s[14:15], vcc
	s_cbranch_execz .LBB13_611
.LBB13_627:
	s_waitcnt lgkmcnt(7)
	global_store_dword v[2:3], v11, off
	s_or_b64 exec, exec, s[14:15]
	s_and_saveexec_b64 s[14:15], s[0:1]
	s_cbranch_execz .LBB13_612
.LBB13_628:
	s_waitcnt lgkmcnt(6)
	global_store_dword v[2:3], v10, off offset:4
	s_or_b64 exec, exec, s[14:15]
	s_and_saveexec_b64 s[0:1], s[2:3]
	s_cbranch_execz .LBB13_613
.LBB13_629:
	s_waitcnt lgkmcnt(5)
	global_store_dword v[2:3], v9, off offset:8
	s_or_b64 exec, exec, s[0:1]
	s_and_saveexec_b64 s[0:1], s[4:5]
	s_cbranch_execz .LBB13_614
.LBB13_630:
	s_waitcnt lgkmcnt(4)
	global_store_dword v[2:3], v8, off offset:12
	s_or_b64 exec, exec, s[0:1]
	s_and_saveexec_b64 s[0:1], s[6:7]
	s_cbranch_execz .LBB13_615
.LBB13_631:
	s_waitcnt lgkmcnt(3)
	global_store_dword v[2:3], v7, off offset:16
	s_or_b64 exec, exec, s[0:1]
	s_and_saveexec_b64 s[0:1], s[8:9]
	s_cbranch_execz .LBB13_616
.LBB13_632:
	s_waitcnt lgkmcnt(2)
	global_store_dword v[2:3], v6, off offset:20
	s_or_b64 exec, exec, s[0:1]
	s_and_saveexec_b64 s[0:1], s[10:11]
	s_cbranch_execz .LBB13_617
.LBB13_633:
	s_waitcnt lgkmcnt(1)
	global_store_dword v[2:3], v5, off offset:24
	s_or_b64 exec, exec, s[0:1]
	s_and_saveexec_b64 s[0:1], s[12:13]
	s_cbranch_execz .LBB13_618
.LBB13_634:
	s_waitcnt lgkmcnt(0)
	global_store_dword v[2:3], v4, off offset:28
	s_endpgm
	.section	.rodata,"a",@progbits
	.p2align	6, 0x0
	.amdhsa_kernel _Z26sort_keys_values_segmentedILj256ELj32ELj8ELb0EN10test_utils16custom_test_typeIfEEiNS0_4lessEEvPT3_PT4_PKjT5_
		.amdhsa_group_segment_fixed_size 16448
		.amdhsa_private_segment_fixed_size 0
		.amdhsa_kernarg_size 28
		.amdhsa_user_sgpr_count 6
		.amdhsa_user_sgpr_private_segment_buffer 1
		.amdhsa_user_sgpr_dispatch_ptr 0
		.amdhsa_user_sgpr_queue_ptr 0
		.amdhsa_user_sgpr_kernarg_segment_ptr 1
		.amdhsa_user_sgpr_dispatch_id 0
		.amdhsa_user_sgpr_flat_scratch_init 0
		.amdhsa_user_sgpr_private_segment_size 0
		.amdhsa_uses_dynamic_stack 0
		.amdhsa_system_sgpr_private_segment_wavefront_offset 0
		.amdhsa_system_sgpr_workgroup_id_x 1
		.amdhsa_system_sgpr_workgroup_id_y 0
		.amdhsa_system_sgpr_workgroup_id_z 0
		.amdhsa_system_sgpr_workgroup_info 0
		.amdhsa_system_vgpr_workitem_id 0
		.amdhsa_next_free_vgpr 68
		.amdhsa_next_free_sgpr 98
		.amdhsa_reserve_vcc 1
		.amdhsa_reserve_flat_scratch 0
		.amdhsa_float_round_mode_32 0
		.amdhsa_float_round_mode_16_64 0
		.amdhsa_float_denorm_mode_32 3
		.amdhsa_float_denorm_mode_16_64 3
		.amdhsa_dx10_clamp 1
		.amdhsa_ieee_mode 1
		.amdhsa_fp16_overflow 0
		.amdhsa_exception_fp_ieee_invalid_op 0
		.amdhsa_exception_fp_denorm_src 0
		.amdhsa_exception_fp_ieee_div_zero 0
		.amdhsa_exception_fp_ieee_overflow 0
		.amdhsa_exception_fp_ieee_underflow 0
		.amdhsa_exception_fp_ieee_inexact 0
		.amdhsa_exception_int_div_zero 0
	.end_amdhsa_kernel
	.section	.text._Z26sort_keys_values_segmentedILj256ELj32ELj8ELb0EN10test_utils16custom_test_typeIfEEiNS0_4lessEEvPT3_PT4_PKjT5_,"axG",@progbits,_Z26sort_keys_values_segmentedILj256ELj32ELj8ELb0EN10test_utils16custom_test_typeIfEEiNS0_4lessEEvPT3_PT4_PKjT5_,comdat
.Lfunc_end13:
	.size	_Z26sort_keys_values_segmentedILj256ELj32ELj8ELb0EN10test_utils16custom_test_typeIfEEiNS0_4lessEEvPT3_PT4_PKjT5_, .Lfunc_end13-_Z26sort_keys_values_segmentedILj256ELj32ELj8ELb0EN10test_utils16custom_test_typeIfEEiNS0_4lessEEvPT3_PT4_PKjT5_
                                        ; -- End function
	.set _Z26sort_keys_values_segmentedILj256ELj32ELj8ELb0EN10test_utils16custom_test_typeIfEEiNS0_4lessEEvPT3_PT4_PKjT5_.num_vgpr, 68
	.set _Z26sort_keys_values_segmentedILj256ELj32ELj8ELb0EN10test_utils16custom_test_typeIfEEiNS0_4lessEEvPT3_PT4_PKjT5_.num_agpr, 0
	.set _Z26sort_keys_values_segmentedILj256ELj32ELj8ELb0EN10test_utils16custom_test_typeIfEEiNS0_4lessEEvPT3_PT4_PKjT5_.numbered_sgpr, 40
	.set _Z26sort_keys_values_segmentedILj256ELj32ELj8ELb0EN10test_utils16custom_test_typeIfEEiNS0_4lessEEvPT3_PT4_PKjT5_.num_named_barrier, 0
	.set _Z26sort_keys_values_segmentedILj256ELj32ELj8ELb0EN10test_utils16custom_test_typeIfEEiNS0_4lessEEvPT3_PT4_PKjT5_.private_seg_size, 0
	.set _Z26sort_keys_values_segmentedILj256ELj32ELj8ELb0EN10test_utils16custom_test_typeIfEEiNS0_4lessEEvPT3_PT4_PKjT5_.uses_vcc, 1
	.set _Z26sort_keys_values_segmentedILj256ELj32ELj8ELb0EN10test_utils16custom_test_typeIfEEiNS0_4lessEEvPT3_PT4_PKjT5_.uses_flat_scratch, 0
	.set _Z26sort_keys_values_segmentedILj256ELj32ELj8ELb0EN10test_utils16custom_test_typeIfEEiNS0_4lessEEvPT3_PT4_PKjT5_.has_dyn_sized_stack, 0
	.set _Z26sort_keys_values_segmentedILj256ELj32ELj8ELb0EN10test_utils16custom_test_typeIfEEiNS0_4lessEEvPT3_PT4_PKjT5_.has_recursion, 0
	.set _Z26sort_keys_values_segmentedILj256ELj32ELj8ELb0EN10test_utils16custom_test_typeIfEEiNS0_4lessEEvPT3_PT4_PKjT5_.has_indirect_call, 0
	.section	.AMDGPU.csdata,"",@progbits
; Kernel info:
; codeLenInByte = 16112
; TotalNumSgprs: 44
; NumVgprs: 68
; ScratchSize: 0
; MemoryBound: 0
; FloatMode: 240
; IeeeMode: 1
; LDSByteSize: 16448 bytes/workgroup (compile time only)
; SGPRBlocks: 12
; VGPRBlocks: 16
; NumSGPRsForWavesPerEU: 102
; NumVGPRsForWavesPerEU: 68
; Occupancy: 3
; WaveLimiterHint : 0
; COMPUTE_PGM_RSRC2:SCRATCH_EN: 0
; COMPUTE_PGM_RSRC2:USER_SGPR: 6
; COMPUTE_PGM_RSRC2:TRAP_HANDLER: 0
; COMPUTE_PGM_RSRC2:TGID_X_EN: 1
; COMPUTE_PGM_RSRC2:TGID_Y_EN: 0
; COMPUTE_PGM_RSRC2:TGID_Z_EN: 0
; COMPUTE_PGM_RSRC2:TIDIG_COMP_CNT: 0
	.section	.text._Z26sort_keys_values_segmentedILj256ELj32ELj4ELb0EN10test_utils16custom_test_typeIfEEiNS0_4lessEEvPT3_PT4_PKjT5_,"axG",@progbits,_Z26sort_keys_values_segmentedILj256ELj32ELj4ELb0EN10test_utils16custom_test_typeIfEEiNS0_4lessEEvPT3_PT4_PKjT5_,comdat
	.protected	_Z26sort_keys_values_segmentedILj256ELj32ELj4ELb0EN10test_utils16custom_test_typeIfEEiNS0_4lessEEvPT3_PT4_PKjT5_ ; -- Begin function _Z26sort_keys_values_segmentedILj256ELj32ELj4ELb0EN10test_utils16custom_test_typeIfEEiNS0_4lessEEvPT3_PT4_PKjT5_
	.globl	_Z26sort_keys_values_segmentedILj256ELj32ELj4ELb0EN10test_utils16custom_test_typeIfEEiNS0_4lessEEvPT3_PT4_PKjT5_
	.p2align	8
	.type	_Z26sort_keys_values_segmentedILj256ELj32ELj4ELb0EN10test_utils16custom_test_typeIfEEiNS0_4lessEEvPT3_PT4_PKjT5_,@function
_Z26sort_keys_values_segmentedILj256ELj32ELj4ELb0EN10test_utils16custom_test_typeIfEEiNS0_4lessEEvPT3_PT4_PKjT5_: ; @_Z26sort_keys_values_segmentedILj256ELj32ELj4ELb0EN10test_utils16custom_test_typeIfEEiNS0_4lessEEvPT3_PT4_PKjT5_
; %bb.0:
	s_load_dwordx2 s[0:1], s[4:5], 0x10
	v_lshrrev_b32_e32 v20, 5, v0
	v_lshl_or_b32 v10, s6, 3, v20
	v_mov_b32_e32 v11, 0
	v_lshlrev_b64 v[0:1], 2, v[10:11]
	s_waitcnt lgkmcnt(0)
	v_mov_b32_e32 v2, s1
	v_add_co_u32_e32 v0, vcc, s0, v0
	v_addc_co_u32_e32 v1, vcc, v2, v1, vcc
	global_load_dword v24, v[0:1], off
	s_load_dwordx4 s[4:7], s[4:5], 0x0
	v_mbcnt_lo_u32_b32 v0, -1, 0
	v_mbcnt_hi_u32_b32 v0, -1, v0
	v_mov_b32_e32 v3, v11
	v_lshlrev_b32_e32 v2, 7, v10
	v_lshlrev_b32_e32 v27, 2, v0
	v_lshlrev_b64 v[0:1], 3, v[2:3]
	v_and_b32_e32 v25, 0x7c, v27
	s_waitcnt lgkmcnt(0)
	v_mov_b32_e32 v4, s5
	v_add_co_u32_e32 v0, vcc, s4, v0
	v_lshlrev_b32_e32 v21, 3, v25
	v_addc_co_u32_e32 v1, vcc, v4, v1, vcc
	v_add_co_u32_e32 v0, vcc, v0, v21
	v_addc_co_u32_e32 v1, vcc, 0, v1, vcc
	v_mov_b32_e32 v9, 0
	v_mov_b32_e32 v8, 0
	s_waitcnt vmcnt(0)
	v_cmp_lt_u32_e32 vcc, v25, v24
	s_and_saveexec_b64 s[0:1], vcc
	s_cbranch_execz .LBB14_2
; %bb.1:
	global_load_dwordx2 v[8:9], v[0:1], off
.LBB14_2:
	s_or_b64 exec, exec, s[0:1]
	v_or_b32_e32 v17, 1, v25
	v_cmp_lt_u32_e64 s[0:1], v17, v24
	v_mov_b32_e32 v10, 0
	s_and_saveexec_b64 s[2:3], s[0:1]
	s_cbranch_execz .LBB14_4
; %bb.3:
	global_load_dwordx2 v[10:11], v[0:1], off offset:8
.LBB14_4:
	s_or_b64 exec, exec, s[2:3]
	v_or_b32_e32 v16, 2, v25
	v_cmp_lt_u32_e64 s[2:3], v16, v24
	v_mov_b32_e32 v13, 0
	v_mov_b32_e32 v15, 0
	;; [unrolled: 1-line block ×3, first 2 shown]
	s_and_saveexec_b64 s[4:5], s[2:3]
	s_cbranch_execz .LBB14_6
; %bb.5:
	global_load_dwordx2 v[14:15], v[0:1], off offset:16
.LBB14_6:
	s_or_b64 exec, exec, s[4:5]
	v_or_b32_e32 v22, 3, v25
	v_cmp_lt_u32_e64 s[4:5], v22, v24
	v_mov_b32_e32 v12, 0
	s_and_saveexec_b64 s[8:9], s[4:5]
	s_cbranch_execz .LBB14_8
; %bb.7:
	global_load_dwordx2 v[12:13], v[0:1], off offset:24
.LBB14_8:
	s_or_b64 exec, exec, s[8:9]
	v_lshlrev_b64 v[2:3], 2, v[2:3]
	v_mov_b32_e32 v4, s7
	v_add_co_u32_e64 v2, s[6:7], s6, v2
	v_addc_co_u32_e64 v3, s[6:7], v4, v3, s[6:7]
	v_lshlrev_b32_e32 v4, 2, v25
	v_add_co_u32_e64 v2, s[6:7], v2, v4
	v_mov_b32_e32 v7, 0
	v_addc_co_u32_e64 v3, s[6:7], 0, v3, s[6:7]
	v_mov_b32_e32 v6, 0
	s_and_saveexec_b64 s[6:7], vcc
	s_cbranch_execz .LBB14_10
; %bb.9:
	global_load_dword v6, v[2:3], off
.LBB14_10:
	s_or_b64 exec, exec, s[6:7]
	s_and_saveexec_b64 s[6:7], s[0:1]
	s_cbranch_execz .LBB14_12
; %bb.11:
	global_load_dword v7, v[2:3], off offset:4
.LBB14_12:
	s_or_b64 exec, exec, s[6:7]
	v_mov_b32_e32 v5, 0
	v_mov_b32_e32 v4, 0
	s_and_saveexec_b64 s[6:7], s[2:3]
	s_cbranch_execz .LBB14_14
; %bb.13:
	global_load_dword v4, v[2:3], off offset:8
.LBB14_14:
	s_or_b64 exec, exec, s[6:7]
	s_and_saveexec_b64 s[6:7], s[4:5]
	s_cbranch_execz .LBB14_16
; %bb.15:
	global_load_dword v5, v[2:3], off offset:12
.LBB14_16:
	s_or_b64 exec, exec, s[6:7]
	s_getpc_b64 s[6:7]
	s_add_u32 s6, s6, _ZN9sort_lastIN10test_utils4lessENS0_16custom_test_typeIfEEE5valueE@rel32@lo+4
	s_addc_u32 s7, s7, _ZN9sort_lastIN10test_utils4lessENS0_16custom_test_typeIfEEE5valueE@rel32@hi+12
	s_load_dwordx2 s[8:9], s[6:7], 0x0
	v_cmp_lt_i32_e64 s[6:7], v17, v24
	s_waitcnt lgkmcnt(0)
	v_mov_b32_e32 v23, s8
	v_mov_b32_e32 v26, s9
	;; [unrolled: 1-line block ×4, first 2 shown]
	s_and_saveexec_b64 s[10:11], s[6:7]
	s_cbranch_execz .LBB14_22
; %bb.17:
	s_waitcnt vmcnt(0)
	v_cmp_nlt_f32_e64 s[6:7], s8, v10
	s_mov_b64 s[14:15], -1
	s_and_saveexec_b64 s[12:13], s[6:7]
	s_cbranch_execz .LBB14_21
; %bb.18:
	v_cmp_eq_f32_e64 s[6:7], s8, v10
	s_mov_b64 s[14:15], 0
	s_and_saveexec_b64 s[16:17], s[6:7]
; %bb.19:
	v_cmp_lt_f32_e64 s[6:7], s9, v11
	s_and_b64 s[14:15], s[6:7], exec
; %bb.20:
	s_or_b64 exec, exec, s[16:17]
	s_orn2_b64 s[14:15], s[14:15], exec
.LBB14_21:
	s_or_b64 exec, exec, s[12:13]
	v_mov_b32_e32 v17, s8
	v_cndmask_b32_e64 v23, v17, v10, s[14:15]
	v_mov_b32_e32 v17, s9
	v_cndmask_b32_e64 v26, v17, v11, s[14:15]
	v_mov_b32_e32 v18, v10
	v_mov_b32_e32 v19, v11
.LBB14_22:
	s_or_b64 exec, exec, s[10:11]
	v_cmp_lt_i32_e64 s[6:7], v16, v24
	v_mov_b32_e32 v16, v23
	v_mov_b32_e32 v17, v26
	s_and_saveexec_b64 s[8:9], s[6:7]
	s_cbranch_execz .LBB14_28
; %bb.23:
	s_waitcnt vmcnt(0)
	v_cmp_nlt_f32_e64 s[6:7], v23, v14
	s_mov_b64 s[12:13], -1
	s_and_saveexec_b64 s[10:11], s[6:7]
	s_cbranch_execz .LBB14_27
; %bb.24:
	v_cmp_eq_f32_e64 s[6:7], v23, v14
	s_mov_b64 s[12:13], 0
	s_and_saveexec_b64 s[14:15], s[6:7]
; %bb.25:
	v_cmp_lt_f32_e64 s[6:7], v26, v15
	s_and_b64 s[12:13], s[6:7], exec
; %bb.26:
	s_or_b64 exec, exec, s[14:15]
	s_orn2_b64 s[12:13], s[12:13], exec
.LBB14_27:
	s_or_b64 exec, exec, s[10:11]
	v_cndmask_b32_e64 v23, v23, v14, s[12:13]
	v_cndmask_b32_e64 v26, v26, v15, s[12:13]
	v_mov_b32_e32 v16, v14
	v_mov_b32_e32 v17, v15
.LBB14_28:
	s_or_b64 exec, exec, s[8:9]
	v_cmp_lt_i32_e64 s[6:7], v22, v24
	s_waitcnt vmcnt(0)
	v_cndmask_b32_e64 v11, v26, v13, s[6:7]
	v_cndmask_b32_e64 v10, v23, v12, s[6:7]
	v_cmp_lt_i32_e64 s[6:7], v25, v24
	s_and_saveexec_b64 s[10:11], s[6:7]
	s_cbranch_execz .LBB14_54
; %bb.29:
	v_cmp_lt_f32_e64 s[12:13], v18, v8
	v_cmp_nlt_f32_e64 s[6:7], v18, v8
	s_and_saveexec_b64 s[14:15], s[6:7]
; %bb.30:
	v_cmp_eq_f32_e64 s[6:7], v18, v8
	v_cmp_lt_f32_e64 s[8:9], v19, v9
	s_and_b64 s[6:7], s[6:7], s[8:9]
	s_andn2_b64 s[8:9], s[12:13], exec
	s_and_b64 s[6:7], s[6:7], exec
	s_or_b64 s[12:13], s[8:9], s[6:7]
; %bb.31:
	s_or_b64 exec, exec, s[14:15]
	v_mov_b32_e32 v22, v19
	v_mov_b32_e32 v12, v18
	;; [unrolled: 1-line block ×3, first 2 shown]
	s_and_saveexec_b64 s[6:7], s[12:13]
; %bb.32:
	v_mov_b32_e32 v22, v9
	v_mov_b32_e32 v12, v8
	;; [unrolled: 1-line block ×6, first 2 shown]
; %bb.33:
	s_or_b64 exec, exec, s[6:7]
	v_cmp_lt_f32_e64 s[12:13], v10, v16
	v_cmp_nlt_f32_e64 s[6:7], v10, v16
	s_and_saveexec_b64 s[14:15], s[6:7]
; %bb.34:
	v_cmp_eq_f32_e64 s[6:7], v10, v16
	v_cmp_lt_f32_e64 s[8:9], v11, v17
	s_and_b64 s[6:7], s[6:7], s[8:9]
	s_andn2_b64 s[8:9], s[12:13], exec
	s_and_b64 s[6:7], s[6:7], exec
	s_or_b64 s[12:13], s[8:9], s[6:7]
; %bb.35:
	s_or_b64 exec, exec, s[14:15]
	v_mov_b32_e32 v18, v11
	v_mov_b32_e32 v19, v10
	;; [unrolled: 1-line block ×3, first 2 shown]
	s_and_saveexec_b64 s[6:7], s[12:13]
; %bb.36:
	v_mov_b32_e32 v18, v17
	v_mov_b32_e32 v19, v16
	;; [unrolled: 1-line block ×6, first 2 shown]
; %bb.37:
	s_or_b64 exec, exec, s[6:7]
	v_cmp_nlt_f32_e64 s[6:7], v16, v12
	s_mov_b64 s[8:9], -1
	s_and_saveexec_b64 s[12:13], s[6:7]
	s_xor_b64 s[12:13], exec, s[12:13]
; %bb.38:
	v_cmp_eq_f32_e64 s[6:7], v16, v12
	v_cmp_lt_f32_e64 s[8:9], v17, v22
	s_and_b64 s[6:7], s[6:7], s[8:9]
	s_orn2_b64 s[8:9], s[6:7], exec
; %bb.39:
	s_or_b64 exec, exec, s[12:13]
	v_mov_b32_e32 v13, v17
	v_mov_b32_e32 v14, v16
	v_mov_b32_e32 v15, v7
	s_and_saveexec_b64 s[6:7], s[8:9]
; %bb.40:
	v_mov_b32_e32 v13, v22
	v_mov_b32_e32 v14, v12
	v_mov_b32_e32 v22, v17
	v_mov_b32_e32 v12, v16
	v_mov_b32_e32 v15, v26
	v_mov_b32_e32 v26, v7
; %bb.41:
	s_or_b64 exec, exec, s[6:7]
	v_cmp_lt_f32_e64 s[12:13], v12, v8
	v_cmp_nlt_f32_e64 s[6:7], v12, v8
	s_and_saveexec_b64 s[14:15], s[6:7]
; %bb.42:
	v_cmp_eq_f32_e64 s[6:7], v12, v8
	v_cmp_lt_f32_e64 s[8:9], v22, v9
	s_and_b64 s[6:7], s[6:7], s[8:9]
	s_andn2_b64 s[8:9], s[12:13], exec
	s_and_b64 s[6:7], s[6:7], exec
	s_or_b64 s[12:13], s[8:9], s[6:7]
; %bb.43:
	s_or_b64 exec, exec, s[14:15]
	v_mov_b32_e32 v7, v22
	v_mov_b32_e32 v16, v8
	v_mov_b32_e32 v6, v23
	s_and_saveexec_b64 s[6:7], s[12:13]
; %bb.44:
	v_mov_b32_e32 v7, v9
	v_mov_b32_e32 v9, v22
	v_mov_b32_e32 v16, v12
	v_mov_b32_e32 v12, v8
	v_mov_b32_e32 v6, v15
	v_mov_b32_e32 v15, v23
; %bb.45:
	s_or_b64 exec, exec, s[6:7]
	v_cmp_lt_f32_e64 s[12:13], v19, v14
	v_cmp_nlt_f32_e64 s[6:7], v19, v14
	s_and_saveexec_b64 s[14:15], s[6:7]
; %bb.46:
	v_cmp_eq_f32_e64 s[6:7], v19, v14
	v_cmp_lt_f32_e64 s[8:9], v18, v13
	s_and_b64 s[6:7], s[6:7], s[8:9]
	s_andn2_b64 s[8:9], s[12:13], exec
	s_and_b64 s[6:7], s[6:7], exec
	s_or_b64 s[12:13], s[8:9], s[6:7]
; %bb.47:
	s_or_b64 exec, exec, s[14:15]
	v_mov_b32_e32 v11, v18
	v_mov_b32_e32 v10, v19
	v_mov_b32_e32 v8, v26
	s_and_saveexec_b64 s[6:7], s[12:13]
; %bb.48:
	v_mov_b32_e32 v11, v13
	v_mov_b32_e32 v10, v14
	v_mov_b32_e32 v13, v18
	v_mov_b32_e32 v14, v19
	v_mov_b32_e32 v8, v5
	v_mov_b32_e32 v5, v26
; %bb.49:
	s_or_b64 exec, exec, s[6:7]
	v_cmp_lt_f32_e64 s[12:13], v14, v12
	v_cmp_nlt_f32_e64 s[6:7], v14, v12
	s_and_saveexec_b64 s[14:15], s[6:7]
; %bb.50:
	v_cmp_eq_f32_e64 s[6:7], v14, v12
	v_cmp_lt_f32_e64 s[8:9], v13, v7
	s_and_b64 s[6:7], s[6:7], s[8:9]
	s_andn2_b64 s[8:9], s[12:13], exec
	s_and_b64 s[6:7], s[6:7], exec
	s_or_b64 s[12:13], s[8:9], s[6:7]
; %bb.51:
	s_or_b64 exec, exec, s[14:15]
	v_mov_b32_e32 v4, v8
	v_mov_b32_e32 v18, v12
	v_mov_b32_e32 v19, v7
	s_and_saveexec_b64 s[6:7], s[12:13]
; %bb.52:
	v_mov_b32_e32 v4, v15
	v_mov_b32_e32 v15, v8
	;; [unrolled: 1-line block ×6, first 2 shown]
; %bb.53:
	s_or_b64 exec, exec, s[6:7]
	v_mov_b32_e32 v7, v15
	v_mov_b32_e32 v8, v16
	;; [unrolled: 1-line block ×4, first 2 shown]
.LBB14_54:
	s_or_b64 exec, exec, s[10:11]
	s_movk_i32 s6, 0x408
	v_mad_u32_u24 v28, v20, s6, v21
	; wave barrier
	ds_write2_b64 v28, v[8:9], v[18:19] offset1:1
	ds_write2_b64 v28, v[16:17], v[10:11] offset0:2 offset1:3
	v_and_b32_e32 v9, 0x78, v27
	v_min_i32_e32 v12, v24, v9
	v_add_u32_e32 v9, 4, v12
	v_min_i32_e32 v29, v24, v9
	v_add_u32_e32 v9, 4, v29
	v_and_b32_e32 v8, 4, v27
	v_min_i32_e32 v30, v24, v9
	v_min_i32_e32 v8, v24, v8
	v_sub_u32_e32 v11, v30, v29
	v_lshlrev_b32_e32 v10, 3, v12
	v_sub_u32_e32 v9, v29, v12
	v_mad_u32_u24 v10, v20, s6, v10
	v_sub_u32_e32 v13, v8, v11
	v_cmp_ge_i32_e64 s[6:7], v8, v11
	v_cndmask_b32_e64 v13, 0, v13, s[6:7]
	v_min_i32_e32 v9, v8, v9
	v_mul_u32_u24_e32 v26, 0x408, v20
	v_cmp_lt_i32_e64 s[6:7], v13, v9
	; wave barrier
	s_and_saveexec_b64 s[8:9], s[6:7]
	s_cbranch_execz .LBB14_62
; %bb.55:
	v_lshlrev_b32_e32 v11, 3, v29
	v_lshlrev_b32_e32 v14, 3, v8
	v_add3_u32 v11, v26, v11, v14
	s_mov_b64 s[10:11], 0
                                        ; implicit-def: $sgpr12_sgpr13
	s_branch .LBB14_58
.LBB14_56:                              ;   in Loop: Header=BB14_58 Depth=1
	s_or_b64 exec, exec, s[18:19]
	s_andn2_b64 s[6:7], s[12:13], exec
	s_and_b64 s[12:13], s[16:17], exec
	s_or_b64 s[12:13], s[6:7], s[12:13]
.LBB14_57:                              ;   in Loop: Header=BB14_58 Depth=1
	s_or_b64 exec, exec, s[14:15]
	v_add_u32_e32 v15, 1, v14
	v_cndmask_b32_e64 v9, v9, v14, s[12:13]
	v_cndmask_b32_e64 v13, v15, v13, s[12:13]
	v_cmp_ge_i32_e64 s[6:7], v13, v9
	s_or_b64 s[10:11], s[6:7], s[10:11]
	s_andn2_b64 exec, exec, s[10:11]
	s_cbranch_execz .LBB14_61
.LBB14_58:                              ; =>This Inner Loop Header: Depth=1
	v_sub_u32_e32 v14, v9, v13
	v_lshrrev_b32_e32 v14, 1, v14
	v_add_u32_e32 v14, v14, v13
	v_lshl_add_u32 v15, v14, 3, v10
	v_not_b32_e32 v16, v14
	v_lshl_add_u32 v16, v16, 3, v11
	ds_read_b32 v17, v15
	ds_read_b32 v18, v16
	s_or_b64 s[12:13], s[12:13], exec
	s_waitcnt lgkmcnt(0)
	v_cmp_nlt_f32_e64 s[6:7], v18, v17
	s_and_saveexec_b64 s[14:15], s[6:7]
	s_cbranch_execz .LBB14_57
; %bb.59:                               ;   in Loop: Header=BB14_58 Depth=1
	v_cmp_eq_f32_e64 s[6:7], v18, v17
	s_mov_b64 s[16:17], 0
	s_and_saveexec_b64 s[18:19], s[6:7]
	s_cbranch_execz .LBB14_56
; %bb.60:                               ;   in Loop: Header=BB14_58 Depth=1
	ds_read_b32 v16, v16 offset:4
	ds_read_b32 v15, v15 offset:4
	s_waitcnt lgkmcnt(0)
	v_cmp_lt_f32_e64 s[6:7], v16, v15
	s_and_b64 s[16:17], s[6:7], exec
	s_branch .LBB14_56
.LBB14_61:
	s_or_b64 exec, exec, s[10:11]
.LBB14_62:
	s_or_b64 exec, exec, s[8:9]
	v_add_u32_e32 v8, v29, v8
	v_sub_u32_e32 v31, v8, v13
	v_lshl_add_u32 v16, v31, 3, v26
	ds_read_b64 v[8:9], v16
	v_lshl_add_u32 v15, v13, 3, v10
	ds_read_b64 v[10:11], v15
	v_add_u32_e32 v32, v13, v12
	v_cmp_gt_i32_e64 s[6:7], v30, v31
	s_waitcnt lgkmcnt(1)
	v_mov_b32_e32 v12, v8
	v_mov_b32_e32 v13, v9
	s_mov_b64 s[10:11], 0
	s_and_saveexec_b64 s[12:13], s[6:7]
	s_cbranch_execz .LBB14_68
; %bb.63:
	v_cmp_gt_i32_e64 s[6:7], v29, v32
	s_waitcnt lgkmcnt(0)
	v_cmp_nlt_f32_e64 s[8:9], v8, v10
	s_and_b64 s[10:11], s[6:7], s[8:9]
	s_mov_b64 s[6:7], -1
	s_and_saveexec_b64 s[8:9], s[10:11]
	s_cbranch_execz .LBB14_67
; %bb.64:
	v_cmp_eq_f32_e64 s[6:7], v8, v10
	s_mov_b64 s[10:11], 0
	s_and_saveexec_b64 s[14:15], s[6:7]
; %bb.65:
	v_cmp_lt_f32_e64 s[6:7], v9, v11
	s_and_b64 s[10:11], s[6:7], exec
; %bb.66:
	s_or_b64 exec, exec, s[14:15]
	s_orn2_b64 s[6:7], s[10:11], exec
.LBB14_67:
	s_or_b64 exec, exec, s[8:9]
	s_and_b64 s[10:11], s[6:7], exec
.LBB14_68:
	s_or_b64 exec, exec, s[12:13]
	s_xor_b64 s[6:7], s[10:11], -1
                                        ; implicit-def: $vgpr14
	s_and_saveexec_b64 s[8:9], s[6:7]
	s_xor_b64 s[6:7], exec, s[8:9]
; %bb.69:
	ds_read_b64 v[14:15], v15 offset:8
                                        ; implicit-def: $vgpr16
; %bb.70:
	s_andn2_saveexec_b64 s[6:7], s[6:7]
	s_cbranch_execz .LBB14_72
; %bb.71:
	ds_read_b64 v[12:13], v16 offset:8
	s_waitcnt lgkmcnt(1)
	v_mov_b32_e32 v15, v11
	v_mov_b32_e32 v14, v10
.LBB14_72:
	s_or_b64 exec, exec, s[6:7]
	v_add_u32_e32 v16, 1, v31
	v_add_u32_e32 v17, 1, v32
	v_cndmask_b32_e64 v33, v31, v16, s[10:11]
	v_cndmask_b32_e64 v34, v17, v32, s[10:11]
	v_cmp_lt_i32_e64 s[6:7], v33, v30
	s_mov_b64 s[12:13], 0
	s_and_saveexec_b64 s[14:15], s[6:7]
	s_cbranch_execz .LBB14_78
; %bb.73:
	v_cmp_lt_i32_e64 s[6:7], v34, v29
	s_waitcnt lgkmcnt(0)
	v_cmp_nlt_f32_e64 s[8:9], v12, v14
	s_and_b64 s[12:13], s[6:7], s[8:9]
	s_mov_b64 s[6:7], -1
	s_and_saveexec_b64 s[8:9], s[12:13]
	s_cbranch_execz .LBB14_77
; %bb.74:
	v_cmp_eq_f32_e64 s[6:7], v12, v14
	s_mov_b64 s[12:13], 0
	s_and_saveexec_b64 s[16:17], s[6:7]
; %bb.75:
	v_cmp_lt_f32_e64 s[6:7], v13, v15
	s_and_b64 s[12:13], s[6:7], exec
; %bb.76:
	s_or_b64 exec, exec, s[16:17]
	s_orn2_b64 s[6:7], s[12:13], exec
.LBB14_77:
	s_or_b64 exec, exec, s[8:9]
	s_and_b64 s[12:13], s[6:7], exec
.LBB14_78:
	s_or_b64 exec, exec, s[14:15]
	s_xor_b64 s[6:7], s[12:13], -1
                                        ; implicit-def: $vgpr16
	s_and_saveexec_b64 s[8:9], s[6:7]
	s_xor_b64 s[6:7], exec, s[8:9]
; %bb.79:
	v_lshl_add_u32 v16, v34, 3, v26
	ds_read_b64 v[16:17], v16 offset:8
; %bb.80:
	s_or_saveexec_b64 s[6:7], s[6:7]
	s_waitcnt lgkmcnt(0)
	v_mov_b32_e32 v18, v12
	v_mov_b32_e32 v19, v13
	s_xor_b64 exec, exec, s[6:7]
; %bb.81:
	v_lshl_add_u32 v16, v33, 3, v26
	ds_read_b64 v[18:19], v16 offset:8
	v_mov_b32_e32 v17, v15
	v_mov_b32_e32 v16, v14
; %bb.82:
	s_or_b64 exec, exec, s[6:7]
	v_add_u32_e32 v20, 1, v33
	v_add_u32_e32 v21, 1, v34
	v_cndmask_b32_e64 v35, v33, v20, s[12:13]
	v_cndmask_b32_e64 v36, v21, v34, s[12:13]
	v_cmp_lt_i32_e64 s[6:7], v35, v30
	s_mov_b64 s[14:15], 0
	s_and_saveexec_b64 s[16:17], s[6:7]
	s_cbranch_execz .LBB14_88
; %bb.83:
	v_cmp_lt_i32_e64 s[6:7], v36, v29
	s_waitcnt lgkmcnt(0)
	v_cmp_nlt_f32_e64 s[8:9], v18, v16
	s_and_b64 s[14:15], s[6:7], s[8:9]
	s_mov_b64 s[6:7], -1
	s_and_saveexec_b64 s[8:9], s[14:15]
	s_cbranch_execz .LBB14_87
; %bb.84:
	v_cmp_eq_f32_e64 s[6:7], v18, v16
	s_mov_b64 s[14:15], 0
	s_and_saveexec_b64 s[18:19], s[6:7]
; %bb.85:
	v_cmp_lt_f32_e64 s[6:7], v19, v17
	s_and_b64 s[14:15], s[6:7], exec
; %bb.86:
	s_or_b64 exec, exec, s[18:19]
	s_orn2_b64 s[6:7], s[14:15], exec
.LBB14_87:
	s_or_b64 exec, exec, s[8:9]
	s_and_b64 s[14:15], s[6:7], exec
.LBB14_88:
	s_or_b64 exec, exec, s[16:17]
	s_xor_b64 s[6:7], s[14:15], -1
                                        ; implicit-def: $vgpr20
	s_and_saveexec_b64 s[8:9], s[6:7]
	s_xor_b64 s[6:7], exec, s[8:9]
; %bb.89:
	v_lshl_add_u32 v20, v36, 3, v26
	ds_read_b64 v[20:21], v20 offset:8
; %bb.90:
	s_or_saveexec_b64 s[6:7], s[6:7]
	s_waitcnt lgkmcnt(0)
	v_mov_b32_e32 v22, v18
	v_mov_b32_e32 v23, v19
	s_xor_b64 exec, exec, s[6:7]
; %bb.91:
	v_lshl_add_u32 v20, v35, 3, v26
	ds_read_b64 v[22:23], v20 offset:8
	v_mov_b32_e32 v21, v17
	v_mov_b32_e32 v20, v16
; %bb.92:
	s_or_b64 exec, exec, s[6:7]
	v_add_u32_e32 v37, 1, v35
	v_add_u32_e32 v38, 1, v36
	v_cndmask_b32_e64 v37, v35, v37, s[14:15]
	v_cndmask_b32_e64 v38, v38, v36, s[14:15]
	v_cmp_lt_i32_e64 s[6:7], v37, v30
	s_mov_b64 s[8:9], 0
	s_and_saveexec_b64 s[16:17], s[6:7]
	s_cbranch_execz .LBB14_98
; %bb.93:
	v_cmp_lt_i32_e64 s[6:7], v38, v29
	s_waitcnt lgkmcnt(0)
	v_cmp_nlt_f32_e64 s[8:9], v22, v20
	s_and_b64 s[18:19], s[6:7], s[8:9]
	s_mov_b64 s[6:7], -1
	s_and_saveexec_b64 s[8:9], s[18:19]
	s_cbranch_execz .LBB14_97
; %bb.94:
	v_cmp_eq_f32_e64 s[6:7], v22, v20
	s_mov_b64 s[18:19], 0
	s_and_saveexec_b64 s[20:21], s[6:7]
; %bb.95:
	v_cmp_lt_f32_e64 s[6:7], v23, v21
	s_and_b64 s[18:19], s[6:7], exec
; %bb.96:
	s_or_b64 exec, exec, s[20:21]
	s_orn2_b64 s[6:7], s[18:19], exec
.LBB14_97:
	s_or_b64 exec, exec, s[8:9]
	s_and_b64 s[8:9], s[6:7], exec
.LBB14_98:
	s_or_b64 exec, exec, s[16:17]
	v_cndmask_b32_e64 v16, v16, v18, s[14:15]
	v_cndmask_b32_e64 v17, v17, v19, s[14:15]
	v_cndmask_b32_e64 v18, v36, v35, s[14:15]
	v_cndmask_b32_e64 v12, v14, v12, s[12:13]
	v_cndmask_b32_e64 v13, v15, v13, s[12:13]
	v_cndmask_b32_e64 v14, v34, v33, s[12:13]
	v_cndmask_b32_e64 v15, v32, v31, s[10:11]
	v_cndmask_b32_e64 v19, v38, v37, s[8:9]
	v_lshl_add_u32 v29, v25, 2, v26
	v_cndmask_b32_e64 v8, v10, v8, s[10:11]
	v_cndmask_b32_e64 v9, v11, v9, s[10:11]
	; wave barrier
	ds_write2_b64 v29, v[6:7], v[4:5] offset1:1
	v_lshl_add_u32 v4, v15, 2, v26
	v_lshl_add_u32 v5, v14, 2, v26
	v_lshl_add_u32 v6, v18, 2, v26
	v_lshl_add_u32 v7, v19, 2, v26
	s_waitcnt lgkmcnt(1)
	v_cndmask_b32_e64 v10, v20, v22, s[8:9]
	v_cndmask_b32_e64 v11, v21, v23, s[8:9]
	; wave barrier
	ds_read_b32 v4, v4
	ds_read_b32 v5, v5
	;; [unrolled: 1-line block ×4, first 2 shown]
	; wave barrier
	ds_write2_b64 v28, v[8:9], v[12:13] offset1:1
	ds_write2_b64 v28, v[16:17], v[10:11] offset0:2 offset1:3
	v_and_b32_e32 v9, 0x70, v27
	v_min_i32_e32 v12, v24, v9
	v_add_u32_e32 v9, 8, v12
	v_min_i32_e32 v30, v24, v9
	v_add_u32_e32 v9, 8, v30
	v_and_b32_e32 v8, 12, v27
	v_min_i32_e32 v31, v24, v9
	v_min_i32_e32 v8, v24, v8
	v_sub_u32_e32 v11, v31, v30
	v_sub_u32_e32 v9, v30, v12
	;; [unrolled: 1-line block ×3, first 2 shown]
	v_cmp_ge_i32_e64 s[6:7], v8, v11
	v_cndmask_b32_e64 v13, 0, v13, s[6:7]
	v_min_i32_e32 v9, v8, v9
	v_lshl_add_u32 v10, v12, 3, v26
	v_cmp_lt_i32_e64 s[6:7], v13, v9
	; wave barrier
	s_and_saveexec_b64 s[8:9], s[6:7]
	s_cbranch_execz .LBB14_106
; %bb.99:
	v_lshlrev_b32_e32 v11, 3, v30
	v_lshlrev_b32_e32 v14, 3, v8
	v_add3_u32 v11, v26, v11, v14
	s_mov_b64 s[10:11], 0
                                        ; implicit-def: $sgpr12_sgpr13
	s_branch .LBB14_102
.LBB14_100:                             ;   in Loop: Header=BB14_102 Depth=1
	s_or_b64 exec, exec, s[18:19]
	s_andn2_b64 s[6:7], s[12:13], exec
	s_and_b64 s[12:13], s[16:17], exec
	s_or_b64 s[12:13], s[6:7], s[12:13]
.LBB14_101:                             ;   in Loop: Header=BB14_102 Depth=1
	s_or_b64 exec, exec, s[14:15]
	v_add_u32_e32 v15, 1, v14
	v_cndmask_b32_e64 v9, v9, v14, s[12:13]
	v_cndmask_b32_e64 v13, v15, v13, s[12:13]
	v_cmp_ge_i32_e64 s[6:7], v13, v9
	s_or_b64 s[10:11], s[6:7], s[10:11]
	s_andn2_b64 exec, exec, s[10:11]
	s_cbranch_execz .LBB14_105
.LBB14_102:                             ; =>This Inner Loop Header: Depth=1
	v_sub_u32_e32 v14, v9, v13
	v_lshrrev_b32_e32 v14, 1, v14
	v_add_u32_e32 v14, v14, v13
	v_lshl_add_u32 v15, v14, 3, v10
	v_not_b32_e32 v16, v14
	v_lshl_add_u32 v16, v16, 3, v11
	ds_read_b32 v17, v15
	ds_read_b32 v18, v16
	s_or_b64 s[12:13], s[12:13], exec
	s_waitcnt lgkmcnt(0)
	v_cmp_nlt_f32_e64 s[6:7], v18, v17
	s_and_saveexec_b64 s[14:15], s[6:7]
	s_cbranch_execz .LBB14_101
; %bb.103:                              ;   in Loop: Header=BB14_102 Depth=1
	v_cmp_eq_f32_e64 s[6:7], v18, v17
	s_mov_b64 s[16:17], 0
	s_and_saveexec_b64 s[18:19], s[6:7]
	s_cbranch_execz .LBB14_100
; %bb.104:                              ;   in Loop: Header=BB14_102 Depth=1
	ds_read_b32 v16, v16 offset:4
	ds_read_b32 v15, v15 offset:4
	s_waitcnt lgkmcnt(0)
	v_cmp_lt_f32_e64 s[6:7], v16, v15
	s_and_b64 s[16:17], s[6:7], exec
	s_branch .LBB14_100
.LBB14_105:
	s_or_b64 exec, exec, s[10:11]
.LBB14_106:
	s_or_b64 exec, exec, s[8:9]
	v_add_u32_e32 v8, v30, v8
	v_sub_u32_e32 v32, v8, v13
	v_lshl_add_u32 v16, v32, 3, v26
	ds_read_b64 v[8:9], v16
	v_lshl_add_u32 v15, v13, 3, v10
	ds_read_b64 v[10:11], v15
	v_add_u32_e32 v33, v13, v12
	v_cmp_gt_i32_e64 s[6:7], v31, v32
	s_waitcnt lgkmcnt(1)
	v_mov_b32_e32 v12, v8
	v_mov_b32_e32 v13, v9
	s_mov_b64 s[10:11], 0
	s_and_saveexec_b64 s[12:13], s[6:7]
	s_cbranch_execz .LBB14_112
; %bb.107:
	v_cmp_gt_i32_e64 s[6:7], v30, v33
	s_waitcnt lgkmcnt(0)
	v_cmp_nlt_f32_e64 s[8:9], v8, v10
	s_and_b64 s[10:11], s[6:7], s[8:9]
	s_mov_b64 s[6:7], -1
	s_and_saveexec_b64 s[8:9], s[10:11]
	s_cbranch_execz .LBB14_111
; %bb.108:
	v_cmp_eq_f32_e64 s[6:7], v8, v10
	s_mov_b64 s[10:11], 0
	s_and_saveexec_b64 s[14:15], s[6:7]
; %bb.109:
	v_cmp_lt_f32_e64 s[6:7], v9, v11
	s_and_b64 s[10:11], s[6:7], exec
; %bb.110:
	s_or_b64 exec, exec, s[14:15]
	s_orn2_b64 s[6:7], s[10:11], exec
.LBB14_111:
	s_or_b64 exec, exec, s[8:9]
	s_and_b64 s[10:11], s[6:7], exec
.LBB14_112:
	s_or_b64 exec, exec, s[12:13]
	s_xor_b64 s[6:7], s[10:11], -1
                                        ; implicit-def: $vgpr14
	s_and_saveexec_b64 s[8:9], s[6:7]
	s_xor_b64 s[6:7], exec, s[8:9]
; %bb.113:
	ds_read_b64 v[14:15], v15 offset:8
                                        ; implicit-def: $vgpr16
; %bb.114:
	s_andn2_saveexec_b64 s[6:7], s[6:7]
	s_cbranch_execz .LBB14_116
; %bb.115:
	ds_read_b64 v[12:13], v16 offset:8
	s_waitcnt lgkmcnt(1)
	v_mov_b32_e32 v15, v11
	v_mov_b32_e32 v14, v10
.LBB14_116:
	s_or_b64 exec, exec, s[6:7]
	v_add_u32_e32 v16, 1, v32
	v_add_u32_e32 v17, 1, v33
	v_cndmask_b32_e64 v34, v32, v16, s[10:11]
	v_cndmask_b32_e64 v35, v17, v33, s[10:11]
	v_cmp_lt_i32_e64 s[6:7], v34, v31
	s_mov_b64 s[12:13], 0
	s_and_saveexec_b64 s[14:15], s[6:7]
	s_cbranch_execz .LBB14_122
; %bb.117:
	v_cmp_lt_i32_e64 s[6:7], v35, v30
	s_waitcnt lgkmcnt(0)
	v_cmp_nlt_f32_e64 s[8:9], v12, v14
	s_and_b64 s[12:13], s[6:7], s[8:9]
	s_mov_b64 s[6:7], -1
	s_and_saveexec_b64 s[8:9], s[12:13]
	s_cbranch_execz .LBB14_121
; %bb.118:
	v_cmp_eq_f32_e64 s[6:7], v12, v14
	s_mov_b64 s[12:13], 0
	s_and_saveexec_b64 s[16:17], s[6:7]
; %bb.119:
	v_cmp_lt_f32_e64 s[6:7], v13, v15
	s_and_b64 s[12:13], s[6:7], exec
; %bb.120:
	s_or_b64 exec, exec, s[16:17]
	s_orn2_b64 s[6:7], s[12:13], exec
.LBB14_121:
	s_or_b64 exec, exec, s[8:9]
	s_and_b64 s[12:13], s[6:7], exec
.LBB14_122:
	s_or_b64 exec, exec, s[14:15]
	s_xor_b64 s[6:7], s[12:13], -1
                                        ; implicit-def: $vgpr16
	s_and_saveexec_b64 s[8:9], s[6:7]
	s_xor_b64 s[6:7], exec, s[8:9]
; %bb.123:
	v_lshl_add_u32 v16, v35, 3, v26
	ds_read_b64 v[16:17], v16 offset:8
; %bb.124:
	s_or_saveexec_b64 s[6:7], s[6:7]
	s_waitcnt lgkmcnt(0)
	v_mov_b32_e32 v18, v12
	v_mov_b32_e32 v19, v13
	s_xor_b64 exec, exec, s[6:7]
; %bb.125:
	v_lshl_add_u32 v16, v34, 3, v26
	ds_read_b64 v[18:19], v16 offset:8
	v_mov_b32_e32 v17, v15
	v_mov_b32_e32 v16, v14
; %bb.126:
	s_or_b64 exec, exec, s[6:7]
	v_add_u32_e32 v20, 1, v34
	v_add_u32_e32 v21, 1, v35
	v_cndmask_b32_e64 v36, v34, v20, s[12:13]
	v_cndmask_b32_e64 v37, v21, v35, s[12:13]
	v_cmp_lt_i32_e64 s[6:7], v36, v31
	s_mov_b64 s[14:15], 0
	s_and_saveexec_b64 s[16:17], s[6:7]
	s_cbranch_execz .LBB14_132
; %bb.127:
	v_cmp_lt_i32_e64 s[6:7], v37, v30
	s_waitcnt lgkmcnt(0)
	v_cmp_nlt_f32_e64 s[8:9], v18, v16
	s_and_b64 s[14:15], s[6:7], s[8:9]
	s_mov_b64 s[6:7], -1
	s_and_saveexec_b64 s[8:9], s[14:15]
	s_cbranch_execz .LBB14_131
; %bb.128:
	v_cmp_eq_f32_e64 s[6:7], v18, v16
	s_mov_b64 s[14:15], 0
	s_and_saveexec_b64 s[18:19], s[6:7]
; %bb.129:
	v_cmp_lt_f32_e64 s[6:7], v19, v17
	s_and_b64 s[14:15], s[6:7], exec
; %bb.130:
	s_or_b64 exec, exec, s[18:19]
	s_orn2_b64 s[6:7], s[14:15], exec
.LBB14_131:
	s_or_b64 exec, exec, s[8:9]
	s_and_b64 s[14:15], s[6:7], exec
.LBB14_132:
	s_or_b64 exec, exec, s[16:17]
	s_xor_b64 s[6:7], s[14:15], -1
                                        ; implicit-def: $vgpr20
	s_and_saveexec_b64 s[8:9], s[6:7]
	s_xor_b64 s[6:7], exec, s[8:9]
; %bb.133:
	v_lshl_add_u32 v20, v37, 3, v26
	ds_read_b64 v[20:21], v20 offset:8
; %bb.134:
	s_or_saveexec_b64 s[6:7], s[6:7]
	s_waitcnt lgkmcnt(0)
	v_mov_b32_e32 v22, v18
	v_mov_b32_e32 v23, v19
	s_xor_b64 exec, exec, s[6:7]
; %bb.135:
	v_lshl_add_u32 v20, v36, 3, v26
	ds_read_b64 v[22:23], v20 offset:8
	v_mov_b32_e32 v21, v17
	v_mov_b32_e32 v20, v16
; %bb.136:
	s_or_b64 exec, exec, s[6:7]
	v_add_u32_e32 v38, 1, v36
	v_add_u32_e32 v39, 1, v37
	v_cndmask_b32_e64 v38, v36, v38, s[14:15]
	v_cndmask_b32_e64 v39, v39, v37, s[14:15]
	v_cmp_lt_i32_e64 s[6:7], v38, v31
	s_mov_b64 s[8:9], 0
	s_and_saveexec_b64 s[16:17], s[6:7]
	s_cbranch_execz .LBB14_142
; %bb.137:
	v_cmp_lt_i32_e64 s[6:7], v39, v30
	s_waitcnt lgkmcnt(0)
	v_cmp_nlt_f32_e64 s[8:9], v22, v20
	s_and_b64 s[18:19], s[6:7], s[8:9]
	s_mov_b64 s[6:7], -1
	s_and_saveexec_b64 s[8:9], s[18:19]
	s_cbranch_execz .LBB14_141
; %bb.138:
	v_cmp_eq_f32_e64 s[6:7], v22, v20
	s_mov_b64 s[18:19], 0
	s_and_saveexec_b64 s[20:21], s[6:7]
; %bb.139:
	v_cmp_lt_f32_e64 s[6:7], v23, v21
	s_and_b64 s[18:19], s[6:7], exec
; %bb.140:
	s_or_b64 exec, exec, s[20:21]
	s_orn2_b64 s[6:7], s[18:19], exec
.LBB14_141:
	s_or_b64 exec, exec, s[8:9]
	s_and_b64 s[8:9], s[6:7], exec
.LBB14_142:
	s_or_b64 exec, exec, s[16:17]
	v_cndmask_b32_e64 v16, v16, v18, s[14:15]
	v_cndmask_b32_e64 v17, v17, v19, s[14:15]
	;; [unrolled: 1-line block ×10, first 2 shown]
	; wave barrier
	ds_write2_b64 v29, v[4:5], v[6:7] offset1:1
	v_lshl_add_u32 v4, v15, 2, v26
	v_lshl_add_u32 v5, v14, 2, v26
	;; [unrolled: 1-line block ×4, first 2 shown]
	s_waitcnt lgkmcnt(1)
	v_cndmask_b32_e64 v10, v20, v22, s[8:9]
	v_cndmask_b32_e64 v11, v21, v23, s[8:9]
	; wave barrier
	ds_read_b32 v4, v4
	ds_read_b32 v5, v5
	;; [unrolled: 1-line block ×4, first 2 shown]
	; wave barrier
	ds_write2_b64 v28, v[8:9], v[12:13] offset1:1
	ds_write2_b64 v28, v[16:17], v[10:11] offset0:2 offset1:3
	v_and_b32_e32 v9, 0x60, v27
	v_min_i32_e32 v12, v24, v9
	v_add_u32_e32 v9, 16, v12
	v_min_i32_e32 v30, v24, v9
	v_add_u32_e32 v9, 16, v30
	v_and_b32_e32 v8, 28, v27
	v_min_i32_e32 v31, v24, v9
	v_min_i32_e32 v8, v24, v8
	v_sub_u32_e32 v11, v31, v30
	v_sub_u32_e32 v9, v30, v12
	;; [unrolled: 1-line block ×3, first 2 shown]
	v_cmp_ge_i32_e64 s[6:7], v8, v11
	v_cndmask_b32_e64 v13, 0, v13, s[6:7]
	v_min_i32_e32 v9, v8, v9
	v_lshl_add_u32 v10, v12, 3, v26
	v_cmp_lt_i32_e64 s[6:7], v13, v9
	; wave barrier
	s_and_saveexec_b64 s[8:9], s[6:7]
	s_cbranch_execz .LBB14_150
; %bb.143:
	v_lshlrev_b32_e32 v11, 3, v30
	v_lshlrev_b32_e32 v14, 3, v8
	v_add3_u32 v11, v26, v11, v14
	s_mov_b64 s[10:11], 0
                                        ; implicit-def: $sgpr12_sgpr13
	s_branch .LBB14_146
.LBB14_144:                             ;   in Loop: Header=BB14_146 Depth=1
	s_or_b64 exec, exec, s[18:19]
	s_andn2_b64 s[6:7], s[12:13], exec
	s_and_b64 s[12:13], s[16:17], exec
	s_or_b64 s[12:13], s[6:7], s[12:13]
.LBB14_145:                             ;   in Loop: Header=BB14_146 Depth=1
	s_or_b64 exec, exec, s[14:15]
	v_add_u32_e32 v15, 1, v14
	v_cndmask_b32_e64 v9, v9, v14, s[12:13]
	v_cndmask_b32_e64 v13, v15, v13, s[12:13]
	v_cmp_ge_i32_e64 s[6:7], v13, v9
	s_or_b64 s[10:11], s[6:7], s[10:11]
	s_andn2_b64 exec, exec, s[10:11]
	s_cbranch_execz .LBB14_149
.LBB14_146:                             ; =>This Inner Loop Header: Depth=1
	v_sub_u32_e32 v14, v9, v13
	v_lshrrev_b32_e32 v14, 1, v14
	v_add_u32_e32 v14, v14, v13
	v_lshl_add_u32 v15, v14, 3, v10
	v_not_b32_e32 v16, v14
	v_lshl_add_u32 v16, v16, 3, v11
	ds_read_b32 v17, v15
	ds_read_b32 v18, v16
	s_or_b64 s[12:13], s[12:13], exec
	s_waitcnt lgkmcnt(0)
	v_cmp_nlt_f32_e64 s[6:7], v18, v17
	s_and_saveexec_b64 s[14:15], s[6:7]
	s_cbranch_execz .LBB14_145
; %bb.147:                              ;   in Loop: Header=BB14_146 Depth=1
	v_cmp_eq_f32_e64 s[6:7], v18, v17
	s_mov_b64 s[16:17], 0
	s_and_saveexec_b64 s[18:19], s[6:7]
	s_cbranch_execz .LBB14_144
; %bb.148:                              ;   in Loop: Header=BB14_146 Depth=1
	ds_read_b32 v16, v16 offset:4
	ds_read_b32 v15, v15 offset:4
	s_waitcnt lgkmcnt(0)
	v_cmp_lt_f32_e64 s[6:7], v16, v15
	s_and_b64 s[16:17], s[6:7], exec
	s_branch .LBB14_144
.LBB14_149:
	s_or_b64 exec, exec, s[10:11]
.LBB14_150:
	s_or_b64 exec, exec, s[8:9]
	v_add_u32_e32 v8, v30, v8
	v_sub_u32_e32 v32, v8, v13
	v_lshl_add_u32 v16, v32, 3, v26
	ds_read_b64 v[8:9], v16
	v_lshl_add_u32 v15, v13, 3, v10
	ds_read_b64 v[10:11], v15
	v_add_u32_e32 v33, v13, v12
	v_cmp_gt_i32_e64 s[6:7], v31, v32
	s_waitcnt lgkmcnt(1)
	v_mov_b32_e32 v12, v8
	v_mov_b32_e32 v13, v9
	s_mov_b64 s[10:11], 0
	s_and_saveexec_b64 s[12:13], s[6:7]
	s_cbranch_execz .LBB14_156
; %bb.151:
	v_cmp_gt_i32_e64 s[6:7], v30, v33
	s_waitcnt lgkmcnt(0)
	v_cmp_nlt_f32_e64 s[8:9], v8, v10
	s_and_b64 s[10:11], s[6:7], s[8:9]
	s_mov_b64 s[6:7], -1
	s_and_saveexec_b64 s[8:9], s[10:11]
	s_cbranch_execz .LBB14_155
; %bb.152:
	v_cmp_eq_f32_e64 s[6:7], v8, v10
	s_mov_b64 s[10:11], 0
	s_and_saveexec_b64 s[14:15], s[6:7]
; %bb.153:
	v_cmp_lt_f32_e64 s[6:7], v9, v11
	s_and_b64 s[10:11], s[6:7], exec
; %bb.154:
	s_or_b64 exec, exec, s[14:15]
	s_orn2_b64 s[6:7], s[10:11], exec
.LBB14_155:
	s_or_b64 exec, exec, s[8:9]
	s_and_b64 s[10:11], s[6:7], exec
.LBB14_156:
	s_or_b64 exec, exec, s[12:13]
	s_xor_b64 s[6:7], s[10:11], -1
                                        ; implicit-def: $vgpr14
	s_and_saveexec_b64 s[8:9], s[6:7]
	s_xor_b64 s[6:7], exec, s[8:9]
; %bb.157:
	ds_read_b64 v[14:15], v15 offset:8
                                        ; implicit-def: $vgpr16
; %bb.158:
	s_andn2_saveexec_b64 s[6:7], s[6:7]
	s_cbranch_execz .LBB14_160
; %bb.159:
	ds_read_b64 v[12:13], v16 offset:8
	s_waitcnt lgkmcnt(1)
	v_mov_b32_e32 v15, v11
	v_mov_b32_e32 v14, v10
.LBB14_160:
	s_or_b64 exec, exec, s[6:7]
	v_add_u32_e32 v16, 1, v32
	v_add_u32_e32 v17, 1, v33
	v_cndmask_b32_e64 v34, v32, v16, s[10:11]
	v_cndmask_b32_e64 v35, v17, v33, s[10:11]
	v_cmp_lt_i32_e64 s[6:7], v34, v31
	s_mov_b64 s[12:13], 0
	s_and_saveexec_b64 s[14:15], s[6:7]
	s_cbranch_execz .LBB14_166
; %bb.161:
	v_cmp_lt_i32_e64 s[6:7], v35, v30
	s_waitcnt lgkmcnt(0)
	v_cmp_nlt_f32_e64 s[8:9], v12, v14
	s_and_b64 s[12:13], s[6:7], s[8:9]
	s_mov_b64 s[6:7], -1
	s_and_saveexec_b64 s[8:9], s[12:13]
	s_cbranch_execz .LBB14_165
; %bb.162:
	v_cmp_eq_f32_e64 s[6:7], v12, v14
	s_mov_b64 s[12:13], 0
	s_and_saveexec_b64 s[16:17], s[6:7]
; %bb.163:
	v_cmp_lt_f32_e64 s[6:7], v13, v15
	s_and_b64 s[12:13], s[6:7], exec
; %bb.164:
	s_or_b64 exec, exec, s[16:17]
	s_orn2_b64 s[6:7], s[12:13], exec
.LBB14_165:
	s_or_b64 exec, exec, s[8:9]
	s_and_b64 s[12:13], s[6:7], exec
.LBB14_166:
	s_or_b64 exec, exec, s[14:15]
	s_xor_b64 s[6:7], s[12:13], -1
                                        ; implicit-def: $vgpr16
	s_and_saveexec_b64 s[8:9], s[6:7]
	s_xor_b64 s[6:7], exec, s[8:9]
; %bb.167:
	v_lshl_add_u32 v16, v35, 3, v26
	ds_read_b64 v[16:17], v16 offset:8
; %bb.168:
	s_or_saveexec_b64 s[6:7], s[6:7]
	s_waitcnt lgkmcnt(0)
	v_mov_b32_e32 v18, v12
	v_mov_b32_e32 v19, v13
	s_xor_b64 exec, exec, s[6:7]
; %bb.169:
	v_lshl_add_u32 v16, v34, 3, v26
	ds_read_b64 v[18:19], v16 offset:8
	v_mov_b32_e32 v17, v15
	v_mov_b32_e32 v16, v14
; %bb.170:
	s_or_b64 exec, exec, s[6:7]
	v_add_u32_e32 v20, 1, v34
	v_add_u32_e32 v21, 1, v35
	v_cndmask_b32_e64 v36, v34, v20, s[12:13]
	v_cndmask_b32_e64 v37, v21, v35, s[12:13]
	v_cmp_lt_i32_e64 s[6:7], v36, v31
	s_mov_b64 s[14:15], 0
	s_and_saveexec_b64 s[16:17], s[6:7]
	s_cbranch_execz .LBB14_176
; %bb.171:
	v_cmp_lt_i32_e64 s[6:7], v37, v30
	s_waitcnt lgkmcnt(0)
	v_cmp_nlt_f32_e64 s[8:9], v18, v16
	s_and_b64 s[14:15], s[6:7], s[8:9]
	s_mov_b64 s[6:7], -1
	s_and_saveexec_b64 s[8:9], s[14:15]
	s_cbranch_execz .LBB14_175
; %bb.172:
	v_cmp_eq_f32_e64 s[6:7], v18, v16
	s_mov_b64 s[14:15], 0
	s_and_saveexec_b64 s[18:19], s[6:7]
; %bb.173:
	v_cmp_lt_f32_e64 s[6:7], v19, v17
	s_and_b64 s[14:15], s[6:7], exec
; %bb.174:
	s_or_b64 exec, exec, s[18:19]
	s_orn2_b64 s[6:7], s[14:15], exec
.LBB14_175:
	s_or_b64 exec, exec, s[8:9]
	s_and_b64 s[14:15], s[6:7], exec
.LBB14_176:
	s_or_b64 exec, exec, s[16:17]
	s_xor_b64 s[6:7], s[14:15], -1
                                        ; implicit-def: $vgpr20
	s_and_saveexec_b64 s[8:9], s[6:7]
	s_xor_b64 s[6:7], exec, s[8:9]
; %bb.177:
	v_lshl_add_u32 v20, v37, 3, v26
	ds_read_b64 v[20:21], v20 offset:8
; %bb.178:
	s_or_saveexec_b64 s[6:7], s[6:7]
	s_waitcnt lgkmcnt(0)
	v_mov_b32_e32 v22, v18
	v_mov_b32_e32 v23, v19
	s_xor_b64 exec, exec, s[6:7]
; %bb.179:
	v_lshl_add_u32 v20, v36, 3, v26
	ds_read_b64 v[22:23], v20 offset:8
	v_mov_b32_e32 v21, v17
	v_mov_b32_e32 v20, v16
; %bb.180:
	s_or_b64 exec, exec, s[6:7]
	v_add_u32_e32 v38, 1, v36
	v_add_u32_e32 v39, 1, v37
	v_cndmask_b32_e64 v38, v36, v38, s[14:15]
	v_cndmask_b32_e64 v39, v39, v37, s[14:15]
	v_cmp_lt_i32_e64 s[6:7], v38, v31
	s_mov_b64 s[8:9], 0
	s_and_saveexec_b64 s[16:17], s[6:7]
	s_cbranch_execz .LBB14_186
; %bb.181:
	v_cmp_lt_i32_e64 s[6:7], v39, v30
	s_waitcnt lgkmcnt(0)
	v_cmp_nlt_f32_e64 s[8:9], v22, v20
	s_and_b64 s[18:19], s[6:7], s[8:9]
	s_mov_b64 s[6:7], -1
	s_and_saveexec_b64 s[8:9], s[18:19]
	s_cbranch_execz .LBB14_185
; %bb.182:
	v_cmp_eq_f32_e64 s[6:7], v22, v20
	s_mov_b64 s[18:19], 0
	s_and_saveexec_b64 s[20:21], s[6:7]
; %bb.183:
	v_cmp_lt_f32_e64 s[6:7], v23, v21
	s_and_b64 s[18:19], s[6:7], exec
; %bb.184:
	s_or_b64 exec, exec, s[20:21]
	s_orn2_b64 s[6:7], s[18:19], exec
.LBB14_185:
	s_or_b64 exec, exec, s[8:9]
	s_and_b64 s[8:9], s[6:7], exec
.LBB14_186:
	s_or_b64 exec, exec, s[16:17]
	v_cndmask_b32_e64 v16, v16, v18, s[14:15]
	v_cndmask_b32_e64 v17, v17, v19, s[14:15]
	;; [unrolled: 1-line block ×10, first 2 shown]
	; wave barrier
	ds_write2_b64 v29, v[4:5], v[6:7] offset1:1
	v_lshl_add_u32 v4, v15, 2, v26
	v_lshl_add_u32 v5, v14, 2, v26
	;; [unrolled: 1-line block ×4, first 2 shown]
	s_waitcnt lgkmcnt(1)
	v_cndmask_b32_e64 v10, v20, v22, s[8:9]
	v_cndmask_b32_e64 v11, v21, v23, s[8:9]
	; wave barrier
	ds_read_b32 v4, v4
	ds_read_b32 v5, v5
	;; [unrolled: 1-line block ×4, first 2 shown]
	; wave barrier
	ds_write2_b64 v28, v[8:9], v[12:13] offset1:1
	ds_write2_b64 v28, v[16:17], v[10:11] offset0:2 offset1:3
	v_and_b32_e32 v9, 64, v27
	v_min_i32_e32 v12, v24, v9
	v_add_u32_e32 v9, 32, v12
	v_and_b32_e32 v8, 60, v27
	v_min_i32_e32 v27, v24, v9
	v_add_u32_e32 v9, 32, v27
	v_min_i32_e32 v30, v24, v9
	v_min_i32_e32 v8, v24, v8
	v_sub_u32_e32 v11, v30, v27
	v_sub_u32_e32 v9, v27, v12
	;; [unrolled: 1-line block ×3, first 2 shown]
	v_cmp_ge_i32_e64 s[6:7], v8, v11
	v_cndmask_b32_e64 v13, 0, v13, s[6:7]
	v_min_i32_e32 v9, v8, v9
	v_lshl_add_u32 v10, v12, 3, v26
	v_cmp_lt_i32_e64 s[6:7], v13, v9
	; wave barrier
	s_and_saveexec_b64 s[8:9], s[6:7]
	s_cbranch_execz .LBB14_194
; %bb.187:
	v_lshlrev_b32_e32 v11, 3, v27
	v_lshlrev_b32_e32 v14, 3, v8
	v_add3_u32 v11, v26, v11, v14
	s_mov_b64 s[10:11], 0
                                        ; implicit-def: $sgpr12_sgpr13
	s_branch .LBB14_190
.LBB14_188:                             ;   in Loop: Header=BB14_190 Depth=1
	s_or_b64 exec, exec, s[18:19]
	s_andn2_b64 s[6:7], s[12:13], exec
	s_and_b64 s[12:13], s[16:17], exec
	s_or_b64 s[12:13], s[6:7], s[12:13]
.LBB14_189:                             ;   in Loop: Header=BB14_190 Depth=1
	s_or_b64 exec, exec, s[14:15]
	v_add_u32_e32 v15, 1, v14
	v_cndmask_b32_e64 v9, v9, v14, s[12:13]
	v_cndmask_b32_e64 v13, v15, v13, s[12:13]
	v_cmp_ge_i32_e64 s[6:7], v13, v9
	s_or_b64 s[10:11], s[6:7], s[10:11]
	s_andn2_b64 exec, exec, s[10:11]
	s_cbranch_execz .LBB14_193
.LBB14_190:                             ; =>This Inner Loop Header: Depth=1
	v_sub_u32_e32 v14, v9, v13
	v_lshrrev_b32_e32 v14, 1, v14
	v_add_u32_e32 v14, v14, v13
	v_lshl_add_u32 v15, v14, 3, v10
	v_not_b32_e32 v16, v14
	v_lshl_add_u32 v16, v16, 3, v11
	ds_read_b32 v17, v15
	ds_read_b32 v18, v16
	s_or_b64 s[12:13], s[12:13], exec
	s_waitcnt lgkmcnt(0)
	v_cmp_nlt_f32_e64 s[6:7], v18, v17
	s_and_saveexec_b64 s[14:15], s[6:7]
	s_cbranch_execz .LBB14_189
; %bb.191:                              ;   in Loop: Header=BB14_190 Depth=1
	v_cmp_eq_f32_e64 s[6:7], v18, v17
	s_mov_b64 s[16:17], 0
	s_and_saveexec_b64 s[18:19], s[6:7]
	s_cbranch_execz .LBB14_188
; %bb.192:                              ;   in Loop: Header=BB14_190 Depth=1
	ds_read_b32 v16, v16 offset:4
	ds_read_b32 v15, v15 offset:4
	s_waitcnt lgkmcnt(0)
	v_cmp_lt_f32_e64 s[6:7], v16, v15
	s_and_b64 s[16:17], s[6:7], exec
	s_branch .LBB14_188
.LBB14_193:
	s_or_b64 exec, exec, s[10:11]
.LBB14_194:
	s_or_b64 exec, exec, s[8:9]
	v_add_u32_e32 v8, v27, v8
	v_sub_u32_e32 v31, v8, v13
	v_lshl_add_u32 v16, v31, 3, v26
	ds_read_b64 v[8:9], v16
	v_lshl_add_u32 v15, v13, 3, v10
	ds_read_b64 v[10:11], v15
	v_add_u32_e32 v32, v13, v12
	v_cmp_gt_i32_e64 s[6:7], v30, v31
	s_waitcnt lgkmcnt(1)
	v_mov_b32_e32 v12, v8
	v_mov_b32_e32 v13, v9
	s_mov_b64 s[10:11], 0
	s_and_saveexec_b64 s[12:13], s[6:7]
	s_cbranch_execz .LBB14_200
; %bb.195:
	v_cmp_gt_i32_e64 s[6:7], v27, v32
	s_waitcnt lgkmcnt(0)
	v_cmp_nlt_f32_e64 s[8:9], v8, v10
	s_and_b64 s[10:11], s[6:7], s[8:9]
	s_mov_b64 s[6:7], -1
	s_and_saveexec_b64 s[8:9], s[10:11]
	s_cbranch_execz .LBB14_199
; %bb.196:
	v_cmp_eq_f32_e64 s[6:7], v8, v10
	s_mov_b64 s[10:11], 0
	s_and_saveexec_b64 s[14:15], s[6:7]
; %bb.197:
	v_cmp_lt_f32_e64 s[6:7], v9, v11
	s_and_b64 s[10:11], s[6:7], exec
; %bb.198:
	s_or_b64 exec, exec, s[14:15]
	s_orn2_b64 s[6:7], s[10:11], exec
.LBB14_199:
	s_or_b64 exec, exec, s[8:9]
	s_and_b64 s[10:11], s[6:7], exec
.LBB14_200:
	s_or_b64 exec, exec, s[12:13]
	s_xor_b64 s[6:7], s[10:11], -1
                                        ; implicit-def: $vgpr14
	s_and_saveexec_b64 s[8:9], s[6:7]
	s_xor_b64 s[6:7], exec, s[8:9]
; %bb.201:
	ds_read_b64 v[14:15], v15 offset:8
                                        ; implicit-def: $vgpr16
; %bb.202:
	s_andn2_saveexec_b64 s[6:7], s[6:7]
	s_cbranch_execz .LBB14_204
; %bb.203:
	ds_read_b64 v[12:13], v16 offset:8
	s_waitcnt lgkmcnt(1)
	v_mov_b32_e32 v15, v11
	v_mov_b32_e32 v14, v10
.LBB14_204:
	s_or_b64 exec, exec, s[6:7]
	v_add_u32_e32 v16, 1, v31
	v_add_u32_e32 v17, 1, v32
	v_cndmask_b32_e64 v33, v31, v16, s[10:11]
	v_cndmask_b32_e64 v34, v17, v32, s[10:11]
	v_cmp_lt_i32_e64 s[6:7], v33, v30
	s_mov_b64 s[12:13], 0
	s_and_saveexec_b64 s[14:15], s[6:7]
	s_cbranch_execz .LBB14_210
; %bb.205:
	v_cmp_lt_i32_e64 s[6:7], v34, v27
	s_waitcnt lgkmcnt(0)
	v_cmp_nlt_f32_e64 s[8:9], v12, v14
	s_and_b64 s[12:13], s[6:7], s[8:9]
	s_mov_b64 s[6:7], -1
	s_and_saveexec_b64 s[8:9], s[12:13]
	s_cbranch_execz .LBB14_209
; %bb.206:
	v_cmp_eq_f32_e64 s[6:7], v12, v14
	s_mov_b64 s[12:13], 0
	s_and_saveexec_b64 s[16:17], s[6:7]
; %bb.207:
	v_cmp_lt_f32_e64 s[6:7], v13, v15
	s_and_b64 s[12:13], s[6:7], exec
; %bb.208:
	s_or_b64 exec, exec, s[16:17]
	s_orn2_b64 s[6:7], s[12:13], exec
.LBB14_209:
	s_or_b64 exec, exec, s[8:9]
	s_and_b64 s[12:13], s[6:7], exec
.LBB14_210:
	s_or_b64 exec, exec, s[14:15]
	s_xor_b64 s[6:7], s[12:13], -1
                                        ; implicit-def: $vgpr16
	s_and_saveexec_b64 s[8:9], s[6:7]
	s_xor_b64 s[6:7], exec, s[8:9]
; %bb.211:
	v_lshl_add_u32 v16, v34, 3, v26
	ds_read_b64 v[16:17], v16 offset:8
; %bb.212:
	s_or_saveexec_b64 s[6:7], s[6:7]
	s_waitcnt lgkmcnt(0)
	v_mov_b32_e32 v18, v12
	v_mov_b32_e32 v19, v13
	s_xor_b64 exec, exec, s[6:7]
; %bb.213:
	v_lshl_add_u32 v16, v33, 3, v26
	ds_read_b64 v[18:19], v16 offset:8
	v_mov_b32_e32 v17, v15
	v_mov_b32_e32 v16, v14
; %bb.214:
	s_or_b64 exec, exec, s[6:7]
	v_add_u32_e32 v20, 1, v33
	v_add_u32_e32 v21, 1, v34
	v_cndmask_b32_e64 v35, v33, v20, s[12:13]
	v_cndmask_b32_e64 v36, v21, v34, s[12:13]
	v_cmp_lt_i32_e64 s[6:7], v35, v30
	s_mov_b64 s[14:15], 0
	s_and_saveexec_b64 s[16:17], s[6:7]
	s_cbranch_execz .LBB14_220
; %bb.215:
	v_cmp_lt_i32_e64 s[6:7], v36, v27
	s_waitcnt lgkmcnt(0)
	v_cmp_nlt_f32_e64 s[8:9], v18, v16
	s_and_b64 s[14:15], s[6:7], s[8:9]
	s_mov_b64 s[6:7], -1
	s_and_saveexec_b64 s[8:9], s[14:15]
	s_cbranch_execz .LBB14_219
; %bb.216:
	v_cmp_eq_f32_e64 s[6:7], v18, v16
	s_mov_b64 s[14:15], 0
	s_and_saveexec_b64 s[18:19], s[6:7]
; %bb.217:
	v_cmp_lt_f32_e64 s[6:7], v19, v17
	s_and_b64 s[14:15], s[6:7], exec
; %bb.218:
	s_or_b64 exec, exec, s[18:19]
	s_orn2_b64 s[6:7], s[14:15], exec
.LBB14_219:
	s_or_b64 exec, exec, s[8:9]
	s_and_b64 s[14:15], s[6:7], exec
.LBB14_220:
	s_or_b64 exec, exec, s[16:17]
	s_xor_b64 s[6:7], s[14:15], -1
                                        ; implicit-def: $vgpr20
	s_and_saveexec_b64 s[8:9], s[6:7]
	s_xor_b64 s[6:7], exec, s[8:9]
; %bb.221:
	v_lshl_add_u32 v20, v36, 3, v26
	ds_read_b64 v[20:21], v20 offset:8
; %bb.222:
	s_or_saveexec_b64 s[6:7], s[6:7]
	s_waitcnt lgkmcnt(0)
	v_mov_b32_e32 v22, v18
	v_mov_b32_e32 v23, v19
	s_xor_b64 exec, exec, s[6:7]
; %bb.223:
	v_lshl_add_u32 v20, v35, 3, v26
	ds_read_b64 v[22:23], v20 offset:8
	v_mov_b32_e32 v21, v17
	v_mov_b32_e32 v20, v16
; %bb.224:
	s_or_b64 exec, exec, s[6:7]
	v_add_u32_e32 v37, 1, v35
	v_add_u32_e32 v38, 1, v36
	v_cndmask_b32_e64 v37, v35, v37, s[14:15]
	v_cndmask_b32_e64 v38, v38, v36, s[14:15]
	v_cmp_lt_i32_e64 s[6:7], v37, v30
	s_mov_b64 s[8:9], 0
	s_and_saveexec_b64 s[16:17], s[6:7]
	s_cbranch_execz .LBB14_230
; %bb.225:
	v_cmp_lt_i32_e64 s[6:7], v38, v27
	s_waitcnt lgkmcnt(0)
	v_cmp_nlt_f32_e64 s[8:9], v22, v20
	s_and_b64 s[18:19], s[6:7], s[8:9]
	s_mov_b64 s[6:7], -1
	s_and_saveexec_b64 s[8:9], s[18:19]
	s_cbranch_execz .LBB14_229
; %bb.226:
	v_cmp_eq_f32_e64 s[6:7], v22, v20
	s_mov_b64 s[18:19], 0
	s_and_saveexec_b64 s[20:21], s[6:7]
; %bb.227:
	v_cmp_lt_f32_e64 s[6:7], v23, v21
	s_and_b64 s[18:19], s[6:7], exec
; %bb.228:
	s_or_b64 exec, exec, s[20:21]
	s_orn2_b64 s[6:7], s[18:19], exec
.LBB14_229:
	s_or_b64 exec, exec, s[8:9]
	s_and_b64 s[8:9], s[6:7], exec
.LBB14_230:
	s_or_b64 exec, exec, s[16:17]
	v_cndmask_b32_e64 v16, v16, v18, s[14:15]
	v_cndmask_b32_e64 v17, v17, v19, s[14:15]
	;; [unrolled: 1-line block ×10, first 2 shown]
	; wave barrier
	ds_write2_b64 v29, v[4:5], v[6:7] offset1:1
	v_lshl_add_u32 v4, v15, 2, v26
	v_lshl_add_u32 v5, v14, 2, v26
	;; [unrolled: 1-line block ×4, first 2 shown]
	s_waitcnt lgkmcnt(1)
	v_cndmask_b32_e64 v10, v20, v22, s[8:9]
	v_cndmask_b32_e64 v11, v21, v23, s[8:9]
	; wave barrier
	ds_read_b32 v4, v4
	ds_read_b32 v5, v5
	;; [unrolled: 1-line block ×4, first 2 shown]
	; wave barrier
	ds_write2_b64 v28, v[8:9], v[12:13] offset1:1
	ds_write2_b64 v28, v[16:17], v[10:11] offset0:2 offset1:3
	v_min_i32_e32 v8, 0, v24
	v_add_u32_e32 v10, 64, v8
	v_min_i32_e32 v9, v24, v25
	v_min_i32_e32 v25, v24, v10
	v_add_u32_e32 v10, 64, v25
	v_min_i32_e32 v24, v24, v10
	v_sub_u32_e32 v11, v24, v25
	v_sub_u32_e32 v10, v25, v8
	;; [unrolled: 1-line block ×3, first 2 shown]
	v_cmp_ge_i32_e64 s[6:7], v9, v11
	v_cndmask_b32_e64 v14, 0, v13, s[6:7]
	v_min_i32_e32 v10, v9, v10
	v_lshl_add_u32 v12, v8, 3, v26
	v_cmp_lt_i32_e64 s[6:7], v14, v10
	; wave barrier
	s_and_saveexec_b64 s[8:9], s[6:7]
	s_cbranch_execz .LBB14_238
; %bb.231:
	v_lshlrev_b32_e32 v11, 3, v25
	v_lshlrev_b32_e32 v13, 3, v9
	v_add3_u32 v11, v26, v11, v13
	s_mov_b64 s[10:11], 0
                                        ; implicit-def: $sgpr12_sgpr13
	s_branch .LBB14_234
.LBB14_232:                             ;   in Loop: Header=BB14_234 Depth=1
	s_or_b64 exec, exec, s[18:19]
	s_andn2_b64 s[6:7], s[12:13], exec
	s_and_b64 s[12:13], s[16:17], exec
	s_or_b64 s[12:13], s[6:7], s[12:13]
.LBB14_233:                             ;   in Loop: Header=BB14_234 Depth=1
	s_or_b64 exec, exec, s[14:15]
	v_add_u32_e32 v15, 1, v13
	v_cndmask_b32_e64 v10, v10, v13, s[12:13]
	v_cndmask_b32_e64 v14, v15, v14, s[12:13]
	v_cmp_ge_i32_e64 s[6:7], v14, v10
	s_or_b64 s[10:11], s[6:7], s[10:11]
	s_andn2_b64 exec, exec, s[10:11]
	s_cbranch_execz .LBB14_237
.LBB14_234:                             ; =>This Inner Loop Header: Depth=1
	v_sub_u32_e32 v13, v10, v14
	v_lshrrev_b32_e32 v13, 1, v13
	v_add_u32_e32 v13, v13, v14
	v_lshl_add_u32 v15, v13, 3, v12
	v_not_b32_e32 v16, v13
	v_lshl_add_u32 v16, v16, 3, v11
	ds_read_b32 v17, v15
	ds_read_b32 v18, v16
	s_or_b64 s[12:13], s[12:13], exec
	s_waitcnt lgkmcnt(0)
	v_cmp_nlt_f32_e64 s[6:7], v18, v17
	s_and_saveexec_b64 s[14:15], s[6:7]
	s_cbranch_execz .LBB14_233
; %bb.235:                              ;   in Loop: Header=BB14_234 Depth=1
	v_cmp_eq_f32_e64 s[6:7], v18, v17
	s_mov_b64 s[16:17], 0
	s_and_saveexec_b64 s[18:19], s[6:7]
	s_cbranch_execz .LBB14_232
; %bb.236:                              ;   in Loop: Header=BB14_234 Depth=1
	ds_read_b32 v16, v16 offset:4
	ds_read_b32 v15, v15 offset:4
	s_waitcnt lgkmcnt(0)
	v_cmp_lt_f32_e64 s[6:7], v16, v15
	s_and_b64 s[16:17], s[6:7], exec
	s_branch .LBB14_232
.LBB14_237:
	s_or_b64 exec, exec, s[10:11]
.LBB14_238:
	s_or_b64 exec, exec, s[8:9]
	v_add_u32_e32 v9, v9, v25
	v_sub_u32_e32 v27, v9, v14
	v_lshl_add_u32 v16, v27, 3, v26
	ds_read_b64 v[10:11], v16
	v_lshl_add_u32 v15, v14, 3, v12
	ds_read_b64 v[12:13], v15
	v_add_u32_e32 v28, v14, v8
	v_cmp_gt_i32_e64 s[6:7], v24, v27
	s_waitcnt lgkmcnt(1)
	v_mov_b32_e32 v8, v10
	v_mov_b32_e32 v9, v11
	s_mov_b64 s[10:11], 0
	s_and_saveexec_b64 s[12:13], s[6:7]
	s_cbranch_execz .LBB14_244
; %bb.239:
	v_cmp_gt_i32_e64 s[6:7], v25, v28
	s_waitcnt lgkmcnt(0)
	v_cmp_nlt_f32_e64 s[8:9], v10, v12
	s_and_b64 s[10:11], s[6:7], s[8:9]
	s_mov_b64 s[6:7], -1
	s_and_saveexec_b64 s[8:9], s[10:11]
	s_cbranch_execz .LBB14_243
; %bb.240:
	v_cmp_eq_f32_e64 s[6:7], v10, v12
	s_mov_b64 s[10:11], 0
	s_and_saveexec_b64 s[14:15], s[6:7]
; %bb.241:
	v_cmp_lt_f32_e64 s[6:7], v11, v13
	s_and_b64 s[10:11], s[6:7], exec
; %bb.242:
	s_or_b64 exec, exec, s[14:15]
	s_orn2_b64 s[6:7], s[10:11], exec
.LBB14_243:
	s_or_b64 exec, exec, s[8:9]
	s_and_b64 s[10:11], s[6:7], exec
.LBB14_244:
	s_or_b64 exec, exec, s[12:13]
	s_xor_b64 s[6:7], s[10:11], -1
                                        ; implicit-def: $vgpr14
	s_and_saveexec_b64 s[8:9], s[6:7]
	s_xor_b64 s[6:7], exec, s[8:9]
; %bb.245:
	ds_read_b64 v[14:15], v15 offset:8
                                        ; implicit-def: $vgpr16
; %bb.246:
	s_andn2_saveexec_b64 s[6:7], s[6:7]
	s_cbranch_execz .LBB14_248
; %bb.247:
	ds_read_b64 v[8:9], v16 offset:8
	s_waitcnt lgkmcnt(1)
	v_mov_b32_e32 v15, v13
	v_mov_b32_e32 v14, v12
.LBB14_248:
	s_or_b64 exec, exec, s[6:7]
	v_add_u32_e32 v16, 1, v27
	v_add_u32_e32 v17, 1, v28
	v_cndmask_b32_e64 v30, v27, v16, s[10:11]
	v_cndmask_b32_e64 v31, v17, v28, s[10:11]
	v_cmp_lt_i32_e64 s[6:7], v30, v24
	s_mov_b64 s[12:13], 0
	s_and_saveexec_b64 s[14:15], s[6:7]
	s_cbranch_execz .LBB14_254
; %bb.249:
	v_cmp_lt_i32_e64 s[6:7], v31, v25
	s_waitcnt lgkmcnt(0)
	v_cmp_nlt_f32_e64 s[8:9], v8, v14
	s_and_b64 s[12:13], s[6:7], s[8:9]
	s_mov_b64 s[6:7], -1
	s_and_saveexec_b64 s[8:9], s[12:13]
	s_cbranch_execz .LBB14_253
; %bb.250:
	v_cmp_eq_f32_e64 s[6:7], v8, v14
	s_mov_b64 s[12:13], 0
	s_and_saveexec_b64 s[16:17], s[6:7]
; %bb.251:
	v_cmp_lt_f32_e64 s[6:7], v9, v15
	s_and_b64 s[12:13], s[6:7], exec
; %bb.252:
	s_or_b64 exec, exec, s[16:17]
	s_orn2_b64 s[6:7], s[12:13], exec
.LBB14_253:
	s_or_b64 exec, exec, s[8:9]
	s_and_b64 s[12:13], s[6:7], exec
.LBB14_254:
	s_or_b64 exec, exec, s[14:15]
	s_xor_b64 s[6:7], s[12:13], -1
                                        ; implicit-def: $vgpr16
	s_and_saveexec_b64 s[8:9], s[6:7]
	s_xor_b64 s[6:7], exec, s[8:9]
; %bb.255:
	v_lshl_add_u32 v16, v31, 3, v26
	ds_read_b64 v[16:17], v16 offset:8
; %bb.256:
	s_or_saveexec_b64 s[6:7], s[6:7]
	s_waitcnt lgkmcnt(0)
	v_mov_b32_e32 v18, v8
	v_mov_b32_e32 v19, v9
	s_xor_b64 exec, exec, s[6:7]
; %bb.257:
	v_lshl_add_u32 v16, v30, 3, v26
	ds_read_b64 v[18:19], v16 offset:8
	v_mov_b32_e32 v17, v15
	v_mov_b32_e32 v16, v14
; %bb.258:
	s_or_b64 exec, exec, s[6:7]
	v_add_u32_e32 v20, 1, v30
	v_add_u32_e32 v21, 1, v31
	v_cndmask_b32_e64 v32, v30, v20, s[12:13]
	v_cndmask_b32_e64 v33, v21, v31, s[12:13]
	v_cmp_lt_i32_e64 s[6:7], v32, v24
	s_mov_b64 s[14:15], 0
	s_and_saveexec_b64 s[16:17], s[6:7]
	s_cbranch_execz .LBB14_264
; %bb.259:
	v_cmp_lt_i32_e64 s[6:7], v33, v25
	s_waitcnt lgkmcnt(0)
	v_cmp_nlt_f32_e64 s[8:9], v18, v16
	s_and_b64 s[14:15], s[6:7], s[8:9]
	s_mov_b64 s[6:7], -1
	s_and_saveexec_b64 s[8:9], s[14:15]
	s_cbranch_execz .LBB14_263
; %bb.260:
	v_cmp_eq_f32_e64 s[6:7], v18, v16
	s_mov_b64 s[14:15], 0
	s_and_saveexec_b64 s[18:19], s[6:7]
; %bb.261:
	v_cmp_lt_f32_e64 s[6:7], v19, v17
	s_and_b64 s[14:15], s[6:7], exec
; %bb.262:
	s_or_b64 exec, exec, s[18:19]
	s_orn2_b64 s[6:7], s[14:15], exec
.LBB14_263:
	s_or_b64 exec, exec, s[8:9]
	s_and_b64 s[14:15], s[6:7], exec
.LBB14_264:
	s_or_b64 exec, exec, s[16:17]
	s_xor_b64 s[6:7], s[14:15], -1
                                        ; implicit-def: $vgpr20
	s_and_saveexec_b64 s[8:9], s[6:7]
	s_xor_b64 s[6:7], exec, s[8:9]
; %bb.265:
	v_lshl_add_u32 v20, v33, 3, v26
	ds_read_b64 v[20:21], v20 offset:8
; %bb.266:
	s_or_saveexec_b64 s[6:7], s[6:7]
	s_waitcnt lgkmcnt(0)
	v_mov_b32_e32 v22, v18
	v_mov_b32_e32 v23, v19
	s_xor_b64 exec, exec, s[6:7]
; %bb.267:
	v_lshl_add_u32 v20, v32, 3, v26
	ds_read_b64 v[22:23], v20 offset:8
	v_mov_b32_e32 v21, v17
	v_mov_b32_e32 v20, v16
; %bb.268:
	s_or_b64 exec, exec, s[6:7]
	v_add_u32_e32 v34, 1, v32
	v_add_u32_e32 v35, 1, v33
	v_cndmask_b32_e64 v34, v32, v34, s[14:15]
	v_cndmask_b32_e64 v35, v35, v33, s[14:15]
	v_cmp_lt_i32_e64 s[6:7], v34, v24
	s_mov_b64 s[8:9], 0
	s_and_saveexec_b64 s[16:17], s[6:7]
	s_cbranch_execz .LBB14_274
; %bb.269:
	v_cmp_lt_i32_e64 s[6:7], v35, v25
	s_waitcnt lgkmcnt(0)
	v_cmp_nlt_f32_e64 s[8:9], v22, v20
	s_and_b64 s[18:19], s[6:7], s[8:9]
	s_mov_b64 s[6:7], -1
	s_and_saveexec_b64 s[8:9], s[18:19]
	s_cbranch_execz .LBB14_273
; %bb.270:
	v_cmp_eq_f32_e64 s[6:7], v22, v20
	s_mov_b64 s[18:19], 0
	s_and_saveexec_b64 s[20:21], s[6:7]
; %bb.271:
	v_cmp_lt_f32_e64 s[6:7], v23, v21
	s_and_b64 s[18:19], s[6:7], exec
; %bb.272:
	s_or_b64 exec, exec, s[20:21]
	s_orn2_b64 s[6:7], s[18:19], exec
.LBB14_273:
	s_or_b64 exec, exec, s[8:9]
	s_and_b64 s[8:9], s[6:7], exec
.LBB14_274:
	s_or_b64 exec, exec, s[16:17]
	v_cndmask_b32_e64 v25, v31, v30, s[12:13]
	v_cndmask_b32_e64 v27, v28, v27, s[10:11]
	;; [unrolled: 1-line block ×4, first 2 shown]
	; wave barrier
	ds_write2_b64 v29, v[4:5], v[6:7] offset1:1
	v_lshl_add_u32 v4, v27, 2, v26
	v_lshl_add_u32 v5, v25, 2, v26
	; wave barrier
	v_lshl_add_u32 v24, v24, 2, v26
	v_lshl_add_u32 v25, v28, 2, v26
	ds_read_b32 v7, v4
	ds_read_b32 v6, v5
	;; [unrolled: 1-line block ×4, first 2 shown]
	s_and_saveexec_b64 s[6:7], vcc
	s_cbranch_execnz .LBB14_283
; %bb.275:
	s_or_b64 exec, exec, s[6:7]
	s_and_saveexec_b64 s[6:7], s[0:1]
	s_cbranch_execnz .LBB14_284
.LBB14_276:
	s_or_b64 exec, exec, s[6:7]
	s_and_saveexec_b64 s[6:7], s[2:3]
	s_cbranch_execnz .LBB14_285
.LBB14_277:
	s_or_b64 exec, exec, s[6:7]
	s_and_saveexec_b64 s[6:7], s[4:5]
	s_cbranch_execnz .LBB14_286
.LBB14_278:
	s_or_b64 exec, exec, s[6:7]
	s_and_saveexec_b64 s[6:7], vcc
	s_cbranch_execnz .LBB14_287
.LBB14_279:
	s_or_b64 exec, exec, s[6:7]
	s_and_saveexec_b64 s[6:7], s[0:1]
	s_cbranch_execnz .LBB14_288
.LBB14_280:
	s_or_b64 exec, exec, s[6:7]
	s_and_saveexec_b64 s[0:1], s[2:3]
	s_cbranch_execnz .LBB14_289
.LBB14_281:
	s_or_b64 exec, exec, s[0:1]
	s_and_saveexec_b64 s[0:1], s[4:5]
	s_cbranch_execnz .LBB14_290
.LBB14_282:
	s_endpgm
.LBB14_283:
	v_cndmask_b32_e64 v10, v12, v10, s[10:11]
	v_cndmask_b32_e64 v11, v13, v11, s[10:11]
	global_store_dwordx2 v[0:1], v[10:11], off
	s_or_b64 exec, exec, s[6:7]
	s_and_saveexec_b64 s[6:7], s[0:1]
	s_cbranch_execz .LBB14_276
.LBB14_284:
	v_cndmask_b32_e64 v8, v14, v8, s[12:13]
	v_cndmask_b32_e64 v9, v15, v9, s[12:13]
	global_store_dwordx2 v[0:1], v[8:9], off offset:8
	s_or_b64 exec, exec, s[6:7]
	s_and_saveexec_b64 s[6:7], s[2:3]
	s_cbranch_execz .LBB14_277
.LBB14_285:
	v_cndmask_b32_e64 v8, v16, v18, s[14:15]
	v_cndmask_b32_e64 v9, v17, v19, s[14:15]
	global_store_dwordx2 v[0:1], v[8:9], off offset:16
	s_or_b64 exec, exec, s[6:7]
	s_and_saveexec_b64 s[6:7], s[4:5]
	s_cbranch_execz .LBB14_278
.LBB14_286:
	s_waitcnt lgkmcnt(5)
	v_cndmask_b32_e64 v8, v20, v22, s[8:9]
	v_cndmask_b32_e64 v9, v21, v23, s[8:9]
	global_store_dwordx2 v[0:1], v[8:9], off offset:24
	s_or_b64 exec, exec, s[6:7]
	s_and_saveexec_b64 s[6:7], vcc
	s_cbranch_execz .LBB14_279
.LBB14_287:
	s_waitcnt lgkmcnt(3)
	global_store_dword v[2:3], v7, off
	s_or_b64 exec, exec, s[6:7]
	s_and_saveexec_b64 s[6:7], s[0:1]
	s_cbranch_execz .LBB14_280
.LBB14_288:
	s_waitcnt lgkmcnt(2)
	global_store_dword v[2:3], v6, off offset:4
	s_or_b64 exec, exec, s[6:7]
	s_and_saveexec_b64 s[0:1], s[2:3]
	s_cbranch_execz .LBB14_281
.LBB14_289:
	s_waitcnt lgkmcnt(1)
	global_store_dword v[2:3], v5, off offset:8
	s_or_b64 exec, exec, s[0:1]
	s_and_saveexec_b64 s[0:1], s[4:5]
	s_cbranch_execz .LBB14_282
.LBB14_290:
	s_waitcnt lgkmcnt(0)
	global_store_dword v[2:3], v4, off offset:12
	s_endpgm
	.section	.rodata,"a",@progbits
	.p2align	6, 0x0
	.amdhsa_kernel _Z26sort_keys_values_segmentedILj256ELj32ELj4ELb0EN10test_utils16custom_test_typeIfEEiNS0_4lessEEvPT3_PT4_PKjT5_
		.amdhsa_group_segment_fixed_size 8256
		.amdhsa_private_segment_fixed_size 0
		.amdhsa_kernarg_size 28
		.amdhsa_user_sgpr_count 6
		.amdhsa_user_sgpr_private_segment_buffer 1
		.amdhsa_user_sgpr_dispatch_ptr 0
		.amdhsa_user_sgpr_queue_ptr 0
		.amdhsa_user_sgpr_kernarg_segment_ptr 1
		.amdhsa_user_sgpr_dispatch_id 0
		.amdhsa_user_sgpr_flat_scratch_init 0
		.amdhsa_user_sgpr_private_segment_size 0
		.amdhsa_uses_dynamic_stack 0
		.amdhsa_system_sgpr_private_segment_wavefront_offset 0
		.amdhsa_system_sgpr_workgroup_id_x 1
		.amdhsa_system_sgpr_workgroup_id_y 0
		.amdhsa_system_sgpr_workgroup_id_z 0
		.amdhsa_system_sgpr_workgroup_info 0
		.amdhsa_system_vgpr_workitem_id 0
		.amdhsa_next_free_vgpr 40
		.amdhsa_next_free_sgpr 77
		.amdhsa_reserve_vcc 1
		.amdhsa_reserve_flat_scratch 0
		.amdhsa_float_round_mode_32 0
		.amdhsa_float_round_mode_16_64 0
		.amdhsa_float_denorm_mode_32 3
		.amdhsa_float_denorm_mode_16_64 3
		.amdhsa_dx10_clamp 1
		.amdhsa_ieee_mode 1
		.amdhsa_fp16_overflow 0
		.amdhsa_exception_fp_ieee_invalid_op 0
		.amdhsa_exception_fp_denorm_src 0
		.amdhsa_exception_fp_ieee_div_zero 0
		.amdhsa_exception_fp_ieee_overflow 0
		.amdhsa_exception_fp_ieee_underflow 0
		.amdhsa_exception_fp_ieee_inexact 0
		.amdhsa_exception_int_div_zero 0
	.end_amdhsa_kernel
	.section	.text._Z26sort_keys_values_segmentedILj256ELj32ELj4ELb0EN10test_utils16custom_test_typeIfEEiNS0_4lessEEvPT3_PT4_PKjT5_,"axG",@progbits,_Z26sort_keys_values_segmentedILj256ELj32ELj4ELb0EN10test_utils16custom_test_typeIfEEiNS0_4lessEEvPT3_PT4_PKjT5_,comdat
.Lfunc_end14:
	.size	_Z26sort_keys_values_segmentedILj256ELj32ELj4ELb0EN10test_utils16custom_test_typeIfEEiNS0_4lessEEvPT3_PT4_PKjT5_, .Lfunc_end14-_Z26sort_keys_values_segmentedILj256ELj32ELj4ELb0EN10test_utils16custom_test_typeIfEEiNS0_4lessEEvPT3_PT4_PKjT5_
                                        ; -- End function
	.set _Z26sort_keys_values_segmentedILj256ELj32ELj4ELb0EN10test_utils16custom_test_typeIfEEiNS0_4lessEEvPT3_PT4_PKjT5_.num_vgpr, 40
	.set _Z26sort_keys_values_segmentedILj256ELj32ELj4ELb0EN10test_utils16custom_test_typeIfEEiNS0_4lessEEvPT3_PT4_PKjT5_.num_agpr, 0
	.set _Z26sort_keys_values_segmentedILj256ELj32ELj4ELb0EN10test_utils16custom_test_typeIfEEiNS0_4lessEEvPT3_PT4_PKjT5_.numbered_sgpr, 22
	.set _Z26sort_keys_values_segmentedILj256ELj32ELj4ELb0EN10test_utils16custom_test_typeIfEEiNS0_4lessEEvPT3_PT4_PKjT5_.num_named_barrier, 0
	.set _Z26sort_keys_values_segmentedILj256ELj32ELj4ELb0EN10test_utils16custom_test_typeIfEEiNS0_4lessEEvPT3_PT4_PKjT5_.private_seg_size, 0
	.set _Z26sort_keys_values_segmentedILj256ELj32ELj4ELb0EN10test_utils16custom_test_typeIfEEiNS0_4lessEEvPT3_PT4_PKjT5_.uses_vcc, 1
	.set _Z26sort_keys_values_segmentedILj256ELj32ELj4ELb0EN10test_utils16custom_test_typeIfEEiNS0_4lessEEvPT3_PT4_PKjT5_.uses_flat_scratch, 0
	.set _Z26sort_keys_values_segmentedILj256ELj32ELj4ELb0EN10test_utils16custom_test_typeIfEEiNS0_4lessEEvPT3_PT4_PKjT5_.has_dyn_sized_stack, 0
	.set _Z26sort_keys_values_segmentedILj256ELj32ELj4ELb0EN10test_utils16custom_test_typeIfEEiNS0_4lessEEvPT3_PT4_PKjT5_.has_recursion, 0
	.set _Z26sort_keys_values_segmentedILj256ELj32ELj4ELb0EN10test_utils16custom_test_typeIfEEiNS0_4lessEEvPT3_PT4_PKjT5_.has_indirect_call, 0
	.section	.AMDGPU.csdata,"",@progbits
; Kernel info:
; codeLenInByte = 7888
; TotalNumSgprs: 26
; NumVgprs: 40
; ScratchSize: 0
; MemoryBound: 0
; FloatMode: 240
; IeeeMode: 1
; LDSByteSize: 8256 bytes/workgroup (compile time only)
; SGPRBlocks: 10
; VGPRBlocks: 9
; NumSGPRsForWavesPerEU: 81
; NumVGPRsForWavesPerEU: 40
; Occupancy: 6
; WaveLimiterHint : 0
; COMPUTE_PGM_RSRC2:SCRATCH_EN: 0
; COMPUTE_PGM_RSRC2:USER_SGPR: 6
; COMPUTE_PGM_RSRC2:TRAP_HANDLER: 0
; COMPUTE_PGM_RSRC2:TGID_X_EN: 1
; COMPUTE_PGM_RSRC2:TGID_Y_EN: 0
; COMPUTE_PGM_RSRC2:TGID_Z_EN: 0
; COMPUTE_PGM_RSRC2:TIDIG_COMP_CNT: 0
	.section	.text._Z26sort_keys_values_segmentedILj256ELj32ELj2ELb0EN10test_utils16custom_test_typeIfEEyNS0_4lessEEvPT3_PT4_PKjT5_,"axG",@progbits,_Z26sort_keys_values_segmentedILj256ELj32ELj2ELb0EN10test_utils16custom_test_typeIfEEyNS0_4lessEEvPT3_PT4_PKjT5_,comdat
	.protected	_Z26sort_keys_values_segmentedILj256ELj32ELj2ELb0EN10test_utils16custom_test_typeIfEEyNS0_4lessEEvPT3_PT4_PKjT5_ ; -- Begin function _Z26sort_keys_values_segmentedILj256ELj32ELj2ELb0EN10test_utils16custom_test_typeIfEEyNS0_4lessEEvPT3_PT4_PKjT5_
	.globl	_Z26sort_keys_values_segmentedILj256ELj32ELj2ELb0EN10test_utils16custom_test_typeIfEEyNS0_4lessEEvPT3_PT4_PKjT5_
	.p2align	8
	.type	_Z26sort_keys_values_segmentedILj256ELj32ELj2ELb0EN10test_utils16custom_test_typeIfEEyNS0_4lessEEvPT3_PT4_PKjT5_,@function
_Z26sort_keys_values_segmentedILj256ELj32ELj2ELb0EN10test_utils16custom_test_typeIfEEyNS0_4lessEEvPT3_PT4_PKjT5_: ; @_Z26sort_keys_values_segmentedILj256ELj32ELj2ELb0EN10test_utils16custom_test_typeIfEEyNS0_4lessEEvPT3_PT4_PKjT5_
; %bb.0:
	s_load_dwordx2 s[0:1], s[4:5], 0x10
	v_lshrrev_b32_e32 v14, 5, v0
	v_lshl_or_b32 v10, s6, 3, v14
	v_mov_b32_e32 v11, 0
	v_lshlrev_b64 v[0:1], 2, v[10:11]
	s_waitcnt lgkmcnt(0)
	v_mov_b32_e32 v2, s1
	v_add_co_u32_e32 v0, vcc, s0, v0
	v_addc_co_u32_e32 v1, vcc, v2, v1, vcc
	global_load_dword v18, v[0:1], off
	s_load_dwordx4 s[0:3], s[4:5], 0x0
	v_mbcnt_lo_u32_b32 v0, -1, 0
	v_lshlrev_b32_e32 v10, 6, v10
	v_mbcnt_hi_u32_b32 v0, -1, v0
	v_lshlrev_b64 v[2:3], 3, v[10:11]
	v_lshlrev_b32_e32 v20, 1, v0
	v_and_b32_e32 v19, 62, v20
	s_waitcnt lgkmcnt(0)
	v_mov_b32_e32 v0, s1
	v_add_co_u32_e32 v1, vcc, s0, v2
	v_lshlrev_b32_e32 v15, 3, v19
	v_addc_co_u32_e32 v4, vcc, v0, v3, vcc
	v_add_co_u32_e32 v0, vcc, v1, v15
	v_addc_co_u32_e32 v1, vcc, 0, v4, vcc
	v_mov_b32_e32 v9, 0
	v_mov_b32_e32 v8, 0
	s_waitcnt vmcnt(0)
	v_cmp_lt_u32_e32 vcc, v19, v18
	s_and_saveexec_b64 s[0:1], vcc
	s_cbranch_execz .LBB15_2
; %bb.1:
	global_load_dwordx2 v[8:9], v[0:1], off
.LBB15_2:
	s_or_b64 exec, exec, s[0:1]
	v_or_b32_e32 v12, 1, v19
	v_cmp_lt_u32_e64 s[0:1], v12, v18
	v_mov_b32_e32 v10, 0
	s_and_saveexec_b64 s[4:5], s[0:1]
	s_cbranch_execz .LBB15_4
; %bb.3:
	global_load_dwordx2 v[10:11], v[0:1], off offset:8
.LBB15_4:
	s_or_b64 exec, exec, s[4:5]
	v_mov_b32_e32 v4, s3
	v_add_co_u32_e64 v2, s[2:3], s2, v2
	v_addc_co_u32_e64 v3, s[2:3], v4, v3, s[2:3]
	v_mov_b32_e32 v6, 0
	v_mov_b32_e32 v4, 0
	v_add_co_u32_e64 v2, s[2:3], v2, v15
	v_mov_b32_e32 v7, 0
	v_mov_b32_e32 v5, 0
	v_addc_co_u32_e64 v3, s[2:3], 0, v3, s[2:3]
	s_and_saveexec_b64 s[2:3], vcc
	s_cbranch_execz .LBB15_6
; %bb.5:
	global_load_dwordx2 v[4:5], v[2:3], off
.LBB15_6:
	s_or_b64 exec, exec, s[2:3]
	s_and_saveexec_b64 s[2:3], s[0:1]
	s_cbranch_execz .LBB15_8
; %bb.7:
	global_load_dwordx2 v[6:7], v[2:3], off offset:8
.LBB15_8:
	s_or_b64 exec, exec, s[2:3]
	s_getpc_b64 s[2:3]
	s_add_u32 s2, s2, _ZN9sort_lastIN10test_utils4lessENS0_16custom_test_typeIfEEE5valueE@rel32@lo+4
	s_addc_u32 s3, s3, _ZN9sort_lastIN10test_utils4lessENS0_16custom_test_typeIfEEE5valueE@rel32@hi+12
	s_load_dwordx2 s[4:5], s[2:3], 0x0
	v_cmp_lt_i32_e64 s[2:3], v12, v18
	s_waitcnt lgkmcnt(0)
	v_mov_b32_e32 v13, s5
	v_mov_b32_e32 v16, s4
	s_waitcnt vmcnt(0)
	v_cndmask_b32_e64 v11, v13, v11, s[2:3]
	v_cndmask_b32_e64 v10, v16, v10, s[2:3]
	v_cmp_lt_i32_e64 s[2:3], v19, v18
	s_and_saveexec_b64 s[6:7], s[2:3]
	s_cbranch_execz .LBB15_14
; %bb.9:
	v_cmp_lt_f32_e64 s[8:9], v10, v8
	v_cmp_nlt_f32_e64 s[2:3], v10, v8
	s_and_saveexec_b64 s[10:11], s[2:3]
; %bb.10:
	v_cmp_eq_f32_e64 s[2:3], v10, v8
	v_cmp_lt_f32_e64 s[4:5], v11, v9
	s_and_b64 s[2:3], s[2:3], s[4:5]
	s_andn2_b64 s[4:5], s[8:9], exec
	s_and_b64 s[2:3], s[2:3], exec
	s_or_b64 s[8:9], s[4:5], s[2:3]
; %bb.11:
	s_or_b64 exec, exec, s[10:11]
	v_mov_b32_e32 v13, v7
	v_mov_b32_e32 v12, v6
	;; [unrolled: 1-line block ×4, first 2 shown]
	s_and_saveexec_b64 s[2:3], s[8:9]
; %bb.12:
	v_mov_b32_e32 v13, v5
	v_mov_b32_e32 v12, v4
	;; [unrolled: 1-line block ×8, first 2 shown]
; %bb.13:
	s_or_b64 exec, exec, s[2:3]
	v_mov_b32_e32 v6, v12
	v_mov_b32_e32 v9, v17
	;; [unrolled: 1-line block ×4, first 2 shown]
.LBB15_14:
	s_or_b64 exec, exec, s[6:7]
	s_movk_i32 s2, 0x208
	v_mad_u32_u24 v17, v14, s2, v15
	; wave barrier
	ds_write2_b64 v17, v[8:9], v[10:11] offset1:1
	v_and_b32_e32 v9, 60, v20
	v_min_i32_e32 v12, v18, v9
	v_add_u32_e32 v9, 2, v12
	v_min_i32_e32 v21, v18, v9
	v_add_u32_e32 v9, 2, v21
	v_and_b32_e32 v8, 2, v20
	v_min_i32_e32 v22, v18, v9
	v_min_i32_e32 v8, v18, v8
	v_sub_u32_e32 v11, v22, v21
	v_lshlrev_b32_e32 v10, 3, v12
	v_sub_u32_e32 v9, v21, v12
	v_mad_u32_u24 v10, v14, s2, v10
	v_sub_u32_e32 v13, v8, v11
	v_cmp_ge_i32_e64 s[2:3], v8, v11
	v_cndmask_b32_e64 v13, 0, v13, s[2:3]
	v_min_i32_e32 v9, v8, v9
	v_mul_u32_u24_e32 v16, 0x208, v14
	v_cmp_lt_i32_e64 s[2:3], v13, v9
	; wave barrier
	s_and_saveexec_b64 s[4:5], s[2:3]
	s_cbranch_execz .LBB15_22
; %bb.15:
	v_lshlrev_b32_e32 v11, 3, v21
	v_lshlrev_b32_e32 v14, 3, v8
	v_add3_u32 v11, v16, v11, v14
	s_mov_b64 s[6:7], 0
                                        ; implicit-def: $sgpr8_sgpr9
	s_branch .LBB15_18
.LBB15_16:                              ;   in Loop: Header=BB15_18 Depth=1
	s_or_b64 exec, exec, s[14:15]
	s_andn2_b64 s[2:3], s[8:9], exec
	s_and_b64 s[8:9], s[12:13], exec
	s_or_b64 s[8:9], s[2:3], s[8:9]
.LBB15_17:                              ;   in Loop: Header=BB15_18 Depth=1
	s_or_b64 exec, exec, s[10:11]
	v_add_u32_e32 v15, 1, v14
	v_cndmask_b32_e64 v9, v9, v14, s[8:9]
	v_cndmask_b32_e64 v13, v15, v13, s[8:9]
	v_cmp_ge_i32_e64 s[2:3], v13, v9
	s_or_b64 s[6:7], s[2:3], s[6:7]
	s_andn2_b64 exec, exec, s[6:7]
	s_cbranch_execz .LBB15_21
.LBB15_18:                              ; =>This Inner Loop Header: Depth=1
	v_sub_u32_e32 v14, v9, v13
	v_lshrrev_b32_e32 v14, 1, v14
	v_add_u32_e32 v14, v14, v13
	v_lshl_add_u32 v15, v14, 3, v10
	v_not_b32_e32 v23, v14
	v_lshl_add_u32 v23, v23, 3, v11
	ds_read_b32 v24, v15
	ds_read_b32 v25, v23
	s_or_b64 s[8:9], s[8:9], exec
	s_waitcnt lgkmcnt(0)
	v_cmp_nlt_f32_e64 s[2:3], v25, v24
	s_and_saveexec_b64 s[10:11], s[2:3]
	s_cbranch_execz .LBB15_17
; %bb.19:                               ;   in Loop: Header=BB15_18 Depth=1
	v_cmp_eq_f32_e64 s[2:3], v25, v24
	s_mov_b64 s[12:13], 0
	s_and_saveexec_b64 s[14:15], s[2:3]
	s_cbranch_execz .LBB15_16
; %bb.20:                               ;   in Loop: Header=BB15_18 Depth=1
	ds_read_b32 v23, v23 offset:4
	ds_read_b32 v15, v15 offset:4
	s_waitcnt lgkmcnt(0)
	v_cmp_lt_f32_e64 s[2:3], v23, v15
	s_and_b64 s[12:13], s[2:3], exec
	s_branch .LBB15_16
.LBB15_21:
	s_or_b64 exec, exec, s[6:7]
.LBB15_22:
	s_or_b64 exec, exec, s[4:5]
	v_add_u32_e32 v8, v21, v8
	v_sub_u32_e32 v23, v8, v13
	v_lshl_add_u32 v25, v23, 3, v16
	ds_read_b64 v[8:9], v25
	v_lshl_add_u32 v15, v13, 3, v10
	ds_read_b64 v[10:11], v15
	v_add_u32_e32 v24, v13, v12
	v_cmp_gt_i32_e64 s[2:3], v22, v23
	s_waitcnt lgkmcnt(1)
	v_mov_b32_e32 v12, v8
	v_mov_b32_e32 v13, v9
	s_mov_b64 s[6:7], 0
	s_and_saveexec_b64 s[8:9], s[2:3]
	s_cbranch_execz .LBB15_28
; %bb.23:
	v_cmp_gt_i32_e64 s[2:3], v21, v24
	s_waitcnt lgkmcnt(0)
	v_cmp_nlt_f32_e64 s[4:5], v8, v10
	s_and_b64 s[6:7], s[2:3], s[4:5]
	s_mov_b64 s[2:3], -1
	s_and_saveexec_b64 s[4:5], s[6:7]
	s_cbranch_execz .LBB15_27
; %bb.24:
	v_cmp_eq_f32_e64 s[2:3], v8, v10
	s_mov_b64 s[6:7], 0
	s_and_saveexec_b64 s[10:11], s[2:3]
; %bb.25:
	v_cmp_lt_f32_e64 s[2:3], v9, v11
	s_and_b64 s[6:7], s[2:3], exec
; %bb.26:
	s_or_b64 exec, exec, s[10:11]
	s_orn2_b64 s[2:3], s[6:7], exec
.LBB15_27:
	s_or_b64 exec, exec, s[4:5]
	s_and_b64 s[6:7], s[2:3], exec
.LBB15_28:
	s_or_b64 exec, exec, s[8:9]
	s_xor_b64 s[2:3], s[6:7], -1
                                        ; implicit-def: $vgpr14
	s_and_saveexec_b64 s[4:5], s[2:3]
	s_xor_b64 s[2:3], exec, s[4:5]
; %bb.29:
	ds_read_b64 v[14:15], v15 offset:8
                                        ; implicit-def: $vgpr25
; %bb.30:
	s_andn2_saveexec_b64 s[2:3], s[2:3]
	s_cbranch_execz .LBB15_32
; %bb.31:
	ds_read_b64 v[12:13], v25 offset:8
	s_waitcnt lgkmcnt(1)
	v_mov_b32_e32 v15, v11
	v_mov_b32_e32 v14, v10
.LBB15_32:
	s_or_b64 exec, exec, s[2:3]
	v_add_u32_e32 v25, 1, v23
	v_add_u32_e32 v26, 1, v24
	v_cndmask_b32_e64 v25, v23, v25, s[6:7]
	v_cndmask_b32_e64 v26, v26, v24, s[6:7]
	v_cmp_lt_i32_e64 s[2:3], v25, v22
	s_mov_b64 s[4:5], 0
	s_and_saveexec_b64 s[8:9], s[2:3]
	s_cbranch_execz .LBB15_38
; %bb.33:
	v_cmp_lt_i32_e64 s[2:3], v26, v21
	s_waitcnt lgkmcnt(0)
	v_cmp_nlt_f32_e64 s[4:5], v12, v14
	s_and_b64 s[10:11], s[2:3], s[4:5]
	s_mov_b64 s[2:3], -1
	s_and_saveexec_b64 s[4:5], s[10:11]
	s_cbranch_execz .LBB15_37
; %bb.34:
	v_cmp_eq_f32_e64 s[2:3], v12, v14
	s_mov_b64 s[10:11], 0
	s_and_saveexec_b64 s[12:13], s[2:3]
; %bb.35:
	v_cmp_lt_f32_e64 s[2:3], v13, v15
	s_and_b64 s[10:11], s[2:3], exec
; %bb.36:
	s_or_b64 exec, exec, s[12:13]
	s_orn2_b64 s[2:3], s[10:11], exec
.LBB15_37:
	s_or_b64 exec, exec, s[4:5]
	s_and_b64 s[4:5], s[2:3], exec
.LBB15_38:
	s_or_b64 exec, exec, s[8:9]
	s_waitcnt lgkmcnt(0)
	v_cndmask_b32_e64 v8, v10, v8, s[6:7]
	v_cndmask_b32_e64 v21, v24, v23, s[6:7]
	;; [unrolled: 1-line block ×6, first 2 shown]
	; wave barrier
	ds_write2_b64 v17, v[4:5], v[6:7] offset1:1
	v_lshl_add_u32 v4, v21, 3, v16
	v_lshl_add_u32 v6, v12, 3, v16
	; wave barrier
	ds_read_b64 v[4:5], v4
	ds_read_b64 v[6:7], v6
	; wave barrier
	ds_write2_b64 v17, v[8:9], v[10:11] offset1:1
	v_and_b32_e32 v9, 56, v20
	v_min_i32_e32 v12, v18, v9
	v_add_u32_e32 v9, 4, v12
	v_min_i32_e32 v21, v18, v9
	v_add_u32_e32 v9, 4, v21
	v_and_b32_e32 v8, 6, v20
	v_min_i32_e32 v22, v18, v9
	v_min_i32_e32 v8, v18, v8
	v_sub_u32_e32 v11, v22, v21
	v_sub_u32_e32 v9, v21, v12
	;; [unrolled: 1-line block ×3, first 2 shown]
	v_cmp_ge_i32_e64 s[2:3], v8, v11
	v_cndmask_b32_e64 v13, 0, v13, s[2:3]
	v_min_i32_e32 v9, v8, v9
	v_lshl_add_u32 v10, v12, 3, v16
	v_cmp_lt_i32_e64 s[2:3], v13, v9
	; wave barrier
	s_and_saveexec_b64 s[4:5], s[2:3]
	s_cbranch_execz .LBB15_46
; %bb.39:
	v_lshlrev_b32_e32 v11, 3, v21
	v_lshlrev_b32_e32 v14, 3, v8
	v_add3_u32 v11, v16, v11, v14
	s_mov_b64 s[6:7], 0
                                        ; implicit-def: $sgpr8_sgpr9
	s_branch .LBB15_42
.LBB15_40:                              ;   in Loop: Header=BB15_42 Depth=1
	s_or_b64 exec, exec, s[14:15]
	s_andn2_b64 s[2:3], s[8:9], exec
	s_and_b64 s[8:9], s[12:13], exec
	s_or_b64 s[8:9], s[2:3], s[8:9]
.LBB15_41:                              ;   in Loop: Header=BB15_42 Depth=1
	s_or_b64 exec, exec, s[10:11]
	v_add_u32_e32 v15, 1, v14
	v_cndmask_b32_e64 v9, v9, v14, s[8:9]
	v_cndmask_b32_e64 v13, v15, v13, s[8:9]
	v_cmp_ge_i32_e64 s[2:3], v13, v9
	s_or_b64 s[6:7], s[2:3], s[6:7]
	s_andn2_b64 exec, exec, s[6:7]
	s_cbranch_execz .LBB15_45
.LBB15_42:                              ; =>This Inner Loop Header: Depth=1
	v_sub_u32_e32 v14, v9, v13
	v_lshrrev_b32_e32 v14, 1, v14
	v_add_u32_e32 v14, v14, v13
	v_lshl_add_u32 v15, v14, 3, v10
	v_not_b32_e32 v23, v14
	v_lshl_add_u32 v23, v23, 3, v11
	ds_read_b32 v24, v15
	ds_read_b32 v25, v23
	s_or_b64 s[8:9], s[8:9], exec
	s_waitcnt lgkmcnt(0)
	v_cmp_nlt_f32_e64 s[2:3], v25, v24
	s_and_saveexec_b64 s[10:11], s[2:3]
	s_cbranch_execz .LBB15_41
; %bb.43:                               ;   in Loop: Header=BB15_42 Depth=1
	v_cmp_eq_f32_e64 s[2:3], v25, v24
	s_mov_b64 s[12:13], 0
	s_and_saveexec_b64 s[14:15], s[2:3]
	s_cbranch_execz .LBB15_40
; %bb.44:                               ;   in Loop: Header=BB15_42 Depth=1
	ds_read_b32 v23, v23 offset:4
	ds_read_b32 v15, v15 offset:4
	s_waitcnt lgkmcnt(0)
	v_cmp_lt_f32_e64 s[2:3], v23, v15
	s_and_b64 s[12:13], s[2:3], exec
	s_branch .LBB15_40
.LBB15_45:
	s_or_b64 exec, exec, s[6:7]
.LBB15_46:
	s_or_b64 exec, exec, s[4:5]
	v_add_u32_e32 v8, v21, v8
	v_sub_u32_e32 v23, v8, v13
	v_lshl_add_u32 v25, v23, 3, v16
	ds_read_b64 v[8:9], v25
	v_lshl_add_u32 v15, v13, 3, v10
	ds_read_b64 v[10:11], v15
	v_add_u32_e32 v24, v13, v12
	v_cmp_gt_i32_e64 s[2:3], v22, v23
	s_waitcnt lgkmcnt(1)
	v_mov_b32_e32 v12, v8
	v_mov_b32_e32 v13, v9
	s_mov_b64 s[6:7], 0
	s_and_saveexec_b64 s[8:9], s[2:3]
	s_cbranch_execz .LBB15_52
; %bb.47:
	v_cmp_gt_i32_e64 s[2:3], v21, v24
	s_waitcnt lgkmcnt(0)
	v_cmp_nlt_f32_e64 s[4:5], v8, v10
	s_and_b64 s[6:7], s[2:3], s[4:5]
	s_mov_b64 s[2:3], -1
	s_and_saveexec_b64 s[4:5], s[6:7]
	s_cbranch_execz .LBB15_51
; %bb.48:
	v_cmp_eq_f32_e64 s[2:3], v8, v10
	s_mov_b64 s[6:7], 0
	s_and_saveexec_b64 s[10:11], s[2:3]
; %bb.49:
	v_cmp_lt_f32_e64 s[2:3], v9, v11
	s_and_b64 s[6:7], s[2:3], exec
; %bb.50:
	s_or_b64 exec, exec, s[10:11]
	s_orn2_b64 s[2:3], s[6:7], exec
.LBB15_51:
	s_or_b64 exec, exec, s[4:5]
	s_and_b64 s[6:7], s[2:3], exec
.LBB15_52:
	s_or_b64 exec, exec, s[8:9]
	s_xor_b64 s[2:3], s[6:7], -1
                                        ; implicit-def: $vgpr14
	s_and_saveexec_b64 s[4:5], s[2:3]
	s_xor_b64 s[2:3], exec, s[4:5]
; %bb.53:
	ds_read_b64 v[14:15], v15 offset:8
                                        ; implicit-def: $vgpr25
; %bb.54:
	s_andn2_saveexec_b64 s[2:3], s[2:3]
	s_cbranch_execz .LBB15_56
; %bb.55:
	ds_read_b64 v[12:13], v25 offset:8
	s_waitcnt lgkmcnt(1)
	v_mov_b32_e32 v15, v11
	v_mov_b32_e32 v14, v10
.LBB15_56:
	s_or_b64 exec, exec, s[2:3]
	v_add_u32_e32 v25, 1, v23
	v_add_u32_e32 v26, 1, v24
	v_cndmask_b32_e64 v25, v23, v25, s[6:7]
	v_cndmask_b32_e64 v26, v26, v24, s[6:7]
	v_cmp_lt_i32_e64 s[2:3], v25, v22
	s_mov_b64 s[4:5], 0
	s_and_saveexec_b64 s[8:9], s[2:3]
	s_cbranch_execz .LBB15_62
; %bb.57:
	v_cmp_lt_i32_e64 s[2:3], v26, v21
	s_waitcnt lgkmcnt(0)
	v_cmp_nlt_f32_e64 s[4:5], v12, v14
	s_and_b64 s[10:11], s[2:3], s[4:5]
	s_mov_b64 s[2:3], -1
	s_and_saveexec_b64 s[4:5], s[10:11]
	s_cbranch_execz .LBB15_61
; %bb.58:
	v_cmp_eq_f32_e64 s[2:3], v12, v14
	s_mov_b64 s[10:11], 0
	s_and_saveexec_b64 s[12:13], s[2:3]
; %bb.59:
	v_cmp_lt_f32_e64 s[2:3], v13, v15
	s_and_b64 s[10:11], s[2:3], exec
; %bb.60:
	s_or_b64 exec, exec, s[12:13]
	s_orn2_b64 s[2:3], s[10:11], exec
.LBB15_61:
	s_or_b64 exec, exec, s[4:5]
	s_and_b64 s[4:5], s[2:3], exec
.LBB15_62:
	s_or_b64 exec, exec, s[8:9]
	s_waitcnt lgkmcnt(0)
	v_cndmask_b32_e64 v8, v10, v8, s[6:7]
	v_cndmask_b32_e64 v21, v24, v23, s[6:7]
	;; [unrolled: 1-line block ×6, first 2 shown]
	; wave barrier
	ds_write2_b64 v17, v[4:5], v[6:7] offset1:1
	v_lshl_add_u32 v4, v21, 3, v16
	v_lshl_add_u32 v6, v12, 3, v16
	; wave barrier
	ds_read_b64 v[4:5], v4
	ds_read_b64 v[6:7], v6
	; wave barrier
	ds_write2_b64 v17, v[8:9], v[10:11] offset1:1
	v_and_b32_e32 v9, 48, v20
	v_min_i32_e32 v12, v18, v9
	v_add_u32_e32 v9, 8, v12
	v_min_i32_e32 v21, v18, v9
	v_add_u32_e32 v9, 8, v21
	v_and_b32_e32 v8, 14, v20
	v_min_i32_e32 v22, v18, v9
	v_min_i32_e32 v8, v18, v8
	v_sub_u32_e32 v11, v22, v21
	v_sub_u32_e32 v9, v21, v12
	;; [unrolled: 1-line block ×3, first 2 shown]
	v_cmp_ge_i32_e64 s[2:3], v8, v11
	v_cndmask_b32_e64 v13, 0, v13, s[2:3]
	v_min_i32_e32 v9, v8, v9
	v_lshl_add_u32 v10, v12, 3, v16
	v_cmp_lt_i32_e64 s[2:3], v13, v9
	; wave barrier
	s_and_saveexec_b64 s[4:5], s[2:3]
	s_cbranch_execz .LBB15_70
; %bb.63:
	v_lshlrev_b32_e32 v11, 3, v21
	v_lshlrev_b32_e32 v14, 3, v8
	v_add3_u32 v11, v16, v11, v14
	s_mov_b64 s[6:7], 0
                                        ; implicit-def: $sgpr8_sgpr9
	s_branch .LBB15_66
.LBB15_64:                              ;   in Loop: Header=BB15_66 Depth=1
	s_or_b64 exec, exec, s[14:15]
	s_andn2_b64 s[2:3], s[8:9], exec
	s_and_b64 s[8:9], s[12:13], exec
	s_or_b64 s[8:9], s[2:3], s[8:9]
.LBB15_65:                              ;   in Loop: Header=BB15_66 Depth=1
	s_or_b64 exec, exec, s[10:11]
	v_add_u32_e32 v15, 1, v14
	v_cndmask_b32_e64 v9, v9, v14, s[8:9]
	v_cndmask_b32_e64 v13, v15, v13, s[8:9]
	v_cmp_ge_i32_e64 s[2:3], v13, v9
	s_or_b64 s[6:7], s[2:3], s[6:7]
	s_andn2_b64 exec, exec, s[6:7]
	s_cbranch_execz .LBB15_69
.LBB15_66:                              ; =>This Inner Loop Header: Depth=1
	v_sub_u32_e32 v14, v9, v13
	v_lshrrev_b32_e32 v14, 1, v14
	v_add_u32_e32 v14, v14, v13
	v_lshl_add_u32 v15, v14, 3, v10
	v_not_b32_e32 v23, v14
	v_lshl_add_u32 v23, v23, 3, v11
	ds_read_b32 v24, v15
	ds_read_b32 v25, v23
	s_or_b64 s[8:9], s[8:9], exec
	s_waitcnt lgkmcnt(0)
	v_cmp_nlt_f32_e64 s[2:3], v25, v24
	s_and_saveexec_b64 s[10:11], s[2:3]
	s_cbranch_execz .LBB15_65
; %bb.67:                               ;   in Loop: Header=BB15_66 Depth=1
	v_cmp_eq_f32_e64 s[2:3], v25, v24
	s_mov_b64 s[12:13], 0
	s_and_saveexec_b64 s[14:15], s[2:3]
	s_cbranch_execz .LBB15_64
; %bb.68:                               ;   in Loop: Header=BB15_66 Depth=1
	ds_read_b32 v23, v23 offset:4
	ds_read_b32 v15, v15 offset:4
	s_waitcnt lgkmcnt(0)
	v_cmp_lt_f32_e64 s[2:3], v23, v15
	s_and_b64 s[12:13], s[2:3], exec
	s_branch .LBB15_64
.LBB15_69:
	s_or_b64 exec, exec, s[6:7]
.LBB15_70:
	s_or_b64 exec, exec, s[4:5]
	v_add_u32_e32 v8, v21, v8
	v_sub_u32_e32 v23, v8, v13
	v_lshl_add_u32 v25, v23, 3, v16
	ds_read_b64 v[8:9], v25
	v_lshl_add_u32 v15, v13, 3, v10
	ds_read_b64 v[10:11], v15
	v_add_u32_e32 v24, v13, v12
	v_cmp_gt_i32_e64 s[2:3], v22, v23
	s_waitcnt lgkmcnt(1)
	v_mov_b32_e32 v12, v8
	v_mov_b32_e32 v13, v9
	s_mov_b64 s[6:7], 0
	s_and_saveexec_b64 s[8:9], s[2:3]
	s_cbranch_execz .LBB15_76
; %bb.71:
	v_cmp_gt_i32_e64 s[2:3], v21, v24
	s_waitcnt lgkmcnt(0)
	v_cmp_nlt_f32_e64 s[4:5], v8, v10
	s_and_b64 s[6:7], s[2:3], s[4:5]
	s_mov_b64 s[2:3], -1
	s_and_saveexec_b64 s[4:5], s[6:7]
	s_cbranch_execz .LBB15_75
; %bb.72:
	v_cmp_eq_f32_e64 s[2:3], v8, v10
	s_mov_b64 s[6:7], 0
	s_and_saveexec_b64 s[10:11], s[2:3]
; %bb.73:
	v_cmp_lt_f32_e64 s[2:3], v9, v11
	s_and_b64 s[6:7], s[2:3], exec
; %bb.74:
	s_or_b64 exec, exec, s[10:11]
	s_orn2_b64 s[2:3], s[6:7], exec
.LBB15_75:
	s_or_b64 exec, exec, s[4:5]
	s_and_b64 s[6:7], s[2:3], exec
.LBB15_76:
	s_or_b64 exec, exec, s[8:9]
	s_xor_b64 s[2:3], s[6:7], -1
                                        ; implicit-def: $vgpr14
	s_and_saveexec_b64 s[4:5], s[2:3]
	s_xor_b64 s[2:3], exec, s[4:5]
; %bb.77:
	ds_read_b64 v[14:15], v15 offset:8
                                        ; implicit-def: $vgpr25
; %bb.78:
	s_andn2_saveexec_b64 s[2:3], s[2:3]
	s_cbranch_execz .LBB15_80
; %bb.79:
	ds_read_b64 v[12:13], v25 offset:8
	s_waitcnt lgkmcnt(1)
	v_mov_b32_e32 v15, v11
	v_mov_b32_e32 v14, v10
.LBB15_80:
	s_or_b64 exec, exec, s[2:3]
	v_add_u32_e32 v25, 1, v23
	v_add_u32_e32 v26, 1, v24
	v_cndmask_b32_e64 v25, v23, v25, s[6:7]
	v_cndmask_b32_e64 v26, v26, v24, s[6:7]
	v_cmp_lt_i32_e64 s[2:3], v25, v22
	s_mov_b64 s[4:5], 0
	s_and_saveexec_b64 s[8:9], s[2:3]
	s_cbranch_execz .LBB15_86
; %bb.81:
	v_cmp_lt_i32_e64 s[2:3], v26, v21
	s_waitcnt lgkmcnt(0)
	v_cmp_nlt_f32_e64 s[4:5], v12, v14
	s_and_b64 s[10:11], s[2:3], s[4:5]
	s_mov_b64 s[2:3], -1
	s_and_saveexec_b64 s[4:5], s[10:11]
	s_cbranch_execz .LBB15_85
; %bb.82:
	v_cmp_eq_f32_e64 s[2:3], v12, v14
	s_mov_b64 s[10:11], 0
	s_and_saveexec_b64 s[12:13], s[2:3]
; %bb.83:
	v_cmp_lt_f32_e64 s[2:3], v13, v15
	s_and_b64 s[10:11], s[2:3], exec
; %bb.84:
	s_or_b64 exec, exec, s[12:13]
	s_orn2_b64 s[2:3], s[10:11], exec
.LBB15_85:
	s_or_b64 exec, exec, s[4:5]
	s_and_b64 s[4:5], s[2:3], exec
.LBB15_86:
	s_or_b64 exec, exec, s[8:9]
	s_waitcnt lgkmcnt(0)
	v_cndmask_b32_e64 v8, v10, v8, s[6:7]
	v_cndmask_b32_e64 v21, v24, v23, s[6:7]
	;; [unrolled: 1-line block ×6, first 2 shown]
	; wave barrier
	ds_write2_b64 v17, v[4:5], v[6:7] offset1:1
	v_lshl_add_u32 v4, v21, 3, v16
	v_lshl_add_u32 v6, v12, 3, v16
	; wave barrier
	ds_read_b64 v[4:5], v4
	ds_read_b64 v[6:7], v6
	; wave barrier
	ds_write2_b64 v17, v[8:9], v[10:11] offset1:1
	v_and_b32_e32 v9, 32, v20
	v_min_i32_e32 v12, v18, v9
	v_add_u32_e32 v9, 16, v12
	v_and_b32_e32 v8, 30, v20
	v_min_i32_e32 v20, v18, v9
	v_add_u32_e32 v9, 16, v20
	v_min_i32_e32 v21, v18, v9
	v_min_i32_e32 v8, v18, v8
	v_sub_u32_e32 v11, v21, v20
	v_sub_u32_e32 v9, v20, v12
	;; [unrolled: 1-line block ×3, first 2 shown]
	v_cmp_ge_i32_e64 s[2:3], v8, v11
	v_cndmask_b32_e64 v13, 0, v13, s[2:3]
	v_min_i32_e32 v9, v8, v9
	v_lshl_add_u32 v10, v12, 3, v16
	v_cmp_lt_i32_e64 s[2:3], v13, v9
	; wave barrier
	s_and_saveexec_b64 s[4:5], s[2:3]
	s_cbranch_execz .LBB15_94
; %bb.87:
	v_lshlrev_b32_e32 v11, 3, v20
	v_lshlrev_b32_e32 v14, 3, v8
	v_add3_u32 v11, v16, v11, v14
	s_mov_b64 s[6:7], 0
                                        ; implicit-def: $sgpr8_sgpr9
	s_branch .LBB15_90
.LBB15_88:                              ;   in Loop: Header=BB15_90 Depth=1
	s_or_b64 exec, exec, s[14:15]
	s_andn2_b64 s[2:3], s[8:9], exec
	s_and_b64 s[8:9], s[12:13], exec
	s_or_b64 s[8:9], s[2:3], s[8:9]
.LBB15_89:                              ;   in Loop: Header=BB15_90 Depth=1
	s_or_b64 exec, exec, s[10:11]
	v_add_u32_e32 v15, 1, v14
	v_cndmask_b32_e64 v9, v9, v14, s[8:9]
	v_cndmask_b32_e64 v13, v15, v13, s[8:9]
	v_cmp_ge_i32_e64 s[2:3], v13, v9
	s_or_b64 s[6:7], s[2:3], s[6:7]
	s_andn2_b64 exec, exec, s[6:7]
	s_cbranch_execz .LBB15_93
.LBB15_90:                              ; =>This Inner Loop Header: Depth=1
	v_sub_u32_e32 v14, v9, v13
	v_lshrrev_b32_e32 v14, 1, v14
	v_add_u32_e32 v14, v14, v13
	v_lshl_add_u32 v15, v14, 3, v10
	v_not_b32_e32 v22, v14
	v_lshl_add_u32 v22, v22, 3, v11
	ds_read_b32 v23, v15
	ds_read_b32 v24, v22
	s_or_b64 s[8:9], s[8:9], exec
	s_waitcnt lgkmcnt(0)
	v_cmp_nlt_f32_e64 s[2:3], v24, v23
	s_and_saveexec_b64 s[10:11], s[2:3]
	s_cbranch_execz .LBB15_89
; %bb.91:                               ;   in Loop: Header=BB15_90 Depth=1
	v_cmp_eq_f32_e64 s[2:3], v24, v23
	s_mov_b64 s[12:13], 0
	s_and_saveexec_b64 s[14:15], s[2:3]
	s_cbranch_execz .LBB15_88
; %bb.92:                               ;   in Loop: Header=BB15_90 Depth=1
	ds_read_b32 v22, v22 offset:4
	ds_read_b32 v15, v15 offset:4
	s_waitcnt lgkmcnt(0)
	v_cmp_lt_f32_e64 s[2:3], v22, v15
	s_and_b64 s[12:13], s[2:3], exec
	s_branch .LBB15_88
.LBB15_93:
	s_or_b64 exec, exec, s[6:7]
.LBB15_94:
	s_or_b64 exec, exec, s[4:5]
	v_add_u32_e32 v8, v20, v8
	v_sub_u32_e32 v22, v8, v13
	v_lshl_add_u32 v24, v22, 3, v16
	ds_read_b64 v[8:9], v24
	v_lshl_add_u32 v15, v13, 3, v10
	ds_read_b64 v[10:11], v15
	v_add_u32_e32 v23, v13, v12
	v_cmp_gt_i32_e64 s[2:3], v21, v22
	s_waitcnt lgkmcnt(1)
	v_mov_b32_e32 v12, v8
	v_mov_b32_e32 v13, v9
	s_mov_b64 s[6:7], 0
	s_and_saveexec_b64 s[8:9], s[2:3]
	s_cbranch_execz .LBB15_100
; %bb.95:
	v_cmp_gt_i32_e64 s[2:3], v20, v23
	s_waitcnt lgkmcnt(0)
	v_cmp_nlt_f32_e64 s[4:5], v8, v10
	s_and_b64 s[6:7], s[2:3], s[4:5]
	s_mov_b64 s[2:3], -1
	s_and_saveexec_b64 s[4:5], s[6:7]
	s_cbranch_execz .LBB15_99
; %bb.96:
	v_cmp_eq_f32_e64 s[2:3], v8, v10
	s_mov_b64 s[6:7], 0
	s_and_saveexec_b64 s[10:11], s[2:3]
; %bb.97:
	v_cmp_lt_f32_e64 s[2:3], v9, v11
	s_and_b64 s[6:7], s[2:3], exec
; %bb.98:
	s_or_b64 exec, exec, s[10:11]
	s_orn2_b64 s[2:3], s[6:7], exec
.LBB15_99:
	s_or_b64 exec, exec, s[4:5]
	s_and_b64 s[6:7], s[2:3], exec
.LBB15_100:
	s_or_b64 exec, exec, s[8:9]
	s_xor_b64 s[2:3], s[6:7], -1
                                        ; implicit-def: $vgpr14
	s_and_saveexec_b64 s[4:5], s[2:3]
	s_xor_b64 s[2:3], exec, s[4:5]
; %bb.101:
	ds_read_b64 v[14:15], v15 offset:8
                                        ; implicit-def: $vgpr24
; %bb.102:
	s_andn2_saveexec_b64 s[2:3], s[2:3]
	s_cbranch_execz .LBB15_104
; %bb.103:
	ds_read_b64 v[12:13], v24 offset:8
	s_waitcnt lgkmcnt(1)
	v_mov_b32_e32 v15, v11
	v_mov_b32_e32 v14, v10
.LBB15_104:
	s_or_b64 exec, exec, s[2:3]
	v_add_u32_e32 v24, 1, v22
	v_add_u32_e32 v25, 1, v23
	v_cndmask_b32_e64 v24, v22, v24, s[6:7]
	v_cndmask_b32_e64 v25, v25, v23, s[6:7]
	v_cmp_lt_i32_e64 s[2:3], v24, v21
	s_mov_b64 s[4:5], 0
	s_and_saveexec_b64 s[8:9], s[2:3]
	s_cbranch_execz .LBB15_110
; %bb.105:
	v_cmp_lt_i32_e64 s[2:3], v25, v20
	s_waitcnt lgkmcnt(0)
	v_cmp_nlt_f32_e64 s[4:5], v12, v14
	s_and_b64 s[10:11], s[2:3], s[4:5]
	s_mov_b64 s[2:3], -1
	s_and_saveexec_b64 s[4:5], s[10:11]
	s_cbranch_execz .LBB15_109
; %bb.106:
	v_cmp_eq_f32_e64 s[2:3], v12, v14
	s_mov_b64 s[10:11], 0
	s_and_saveexec_b64 s[12:13], s[2:3]
; %bb.107:
	v_cmp_lt_f32_e64 s[2:3], v13, v15
	s_and_b64 s[10:11], s[2:3], exec
; %bb.108:
	s_or_b64 exec, exec, s[12:13]
	s_orn2_b64 s[2:3], s[10:11], exec
.LBB15_109:
	s_or_b64 exec, exec, s[4:5]
	s_and_b64 s[4:5], s[2:3], exec
.LBB15_110:
	s_or_b64 exec, exec, s[8:9]
	s_waitcnt lgkmcnt(0)
	v_cndmask_b32_e64 v8, v10, v8, s[6:7]
	v_cndmask_b32_e64 v20, v23, v22, s[6:7]
	;; [unrolled: 1-line block ×6, first 2 shown]
	; wave barrier
	ds_write2_b64 v17, v[4:5], v[6:7] offset1:1
	v_lshl_add_u32 v4, v20, 3, v16
	v_lshl_add_u32 v6, v12, 3, v16
	; wave barrier
	ds_read_b64 v[4:5], v4
	ds_read_b64 v[6:7], v6
	; wave barrier
	ds_write2_b64 v17, v[8:9], v[10:11] offset1:1
	v_min_i32_e32 v8, 0, v18
	v_add_u32_e32 v10, 32, v8
	v_min_i32_e32 v9, v18, v19
	v_min_i32_e32 v19, v18, v10
	v_add_u32_e32 v10, 32, v19
	v_min_i32_e32 v18, v18, v10
	v_sub_u32_e32 v11, v18, v19
	v_sub_u32_e32 v10, v19, v8
	;; [unrolled: 1-line block ×3, first 2 shown]
	v_cmp_ge_i32_e64 s[2:3], v9, v11
	v_cndmask_b32_e64 v14, 0, v13, s[2:3]
	v_min_i32_e32 v10, v9, v10
	v_lshl_add_u32 v12, v8, 3, v16
	v_cmp_lt_i32_e64 s[2:3], v14, v10
	; wave barrier
	s_and_saveexec_b64 s[4:5], s[2:3]
	s_cbranch_execz .LBB15_118
; %bb.111:
	v_lshlrev_b32_e32 v11, 3, v19
	v_lshlrev_b32_e32 v13, 3, v9
	v_add3_u32 v11, v16, v11, v13
	s_mov_b64 s[6:7], 0
                                        ; implicit-def: $sgpr8_sgpr9
	s_branch .LBB15_114
.LBB15_112:                             ;   in Loop: Header=BB15_114 Depth=1
	s_or_b64 exec, exec, s[14:15]
	s_andn2_b64 s[2:3], s[8:9], exec
	s_and_b64 s[8:9], s[12:13], exec
	s_or_b64 s[8:9], s[2:3], s[8:9]
.LBB15_113:                             ;   in Loop: Header=BB15_114 Depth=1
	s_or_b64 exec, exec, s[10:11]
	v_add_u32_e32 v15, 1, v13
	v_cndmask_b32_e64 v10, v10, v13, s[8:9]
	v_cndmask_b32_e64 v14, v15, v14, s[8:9]
	v_cmp_ge_i32_e64 s[2:3], v14, v10
	s_or_b64 s[6:7], s[2:3], s[6:7]
	s_andn2_b64 exec, exec, s[6:7]
	s_cbranch_execz .LBB15_117
.LBB15_114:                             ; =>This Inner Loop Header: Depth=1
	v_sub_u32_e32 v13, v10, v14
	v_lshrrev_b32_e32 v13, 1, v13
	v_add_u32_e32 v13, v13, v14
	v_lshl_add_u32 v15, v13, 3, v12
	v_not_b32_e32 v20, v13
	v_lshl_add_u32 v20, v20, 3, v11
	ds_read_b32 v21, v15
	ds_read_b32 v22, v20
	s_or_b64 s[8:9], s[8:9], exec
	s_waitcnt lgkmcnt(0)
	v_cmp_nlt_f32_e64 s[2:3], v22, v21
	s_and_saveexec_b64 s[10:11], s[2:3]
	s_cbranch_execz .LBB15_113
; %bb.115:                              ;   in Loop: Header=BB15_114 Depth=1
	v_cmp_eq_f32_e64 s[2:3], v22, v21
	s_mov_b64 s[12:13], 0
	s_and_saveexec_b64 s[14:15], s[2:3]
	s_cbranch_execz .LBB15_112
; %bb.116:                              ;   in Loop: Header=BB15_114 Depth=1
	ds_read_b32 v20, v20 offset:4
	ds_read_b32 v15, v15 offset:4
	s_waitcnt lgkmcnt(0)
	v_cmp_lt_f32_e64 s[2:3], v20, v15
	s_and_b64 s[12:13], s[2:3], exec
	s_branch .LBB15_112
.LBB15_117:
	s_or_b64 exec, exec, s[6:7]
.LBB15_118:
	s_or_b64 exec, exec, s[4:5]
	v_add_u32_e32 v9, v9, v19
	v_sub_u32_e32 v20, v9, v14
	v_lshl_add_u32 v22, v20, 3, v16
	ds_read_b64 v[10:11], v22
	v_lshl_add_u32 v15, v14, 3, v12
	ds_read_b64 v[12:13], v15
	v_add_u32_e32 v21, v14, v8
	v_cmp_gt_i32_e64 s[2:3], v18, v20
	s_waitcnt lgkmcnt(1)
	v_mov_b32_e32 v8, v10
	v_mov_b32_e32 v9, v11
	s_mov_b64 s[6:7], 0
	s_and_saveexec_b64 s[8:9], s[2:3]
	s_cbranch_execz .LBB15_124
; %bb.119:
	v_cmp_gt_i32_e64 s[2:3], v19, v21
	s_waitcnt lgkmcnt(0)
	v_cmp_nlt_f32_e64 s[4:5], v10, v12
	s_and_b64 s[6:7], s[2:3], s[4:5]
	s_mov_b64 s[2:3], -1
	s_and_saveexec_b64 s[4:5], s[6:7]
	s_cbranch_execz .LBB15_123
; %bb.120:
	v_cmp_eq_f32_e64 s[2:3], v10, v12
	s_mov_b64 s[6:7], 0
	s_and_saveexec_b64 s[10:11], s[2:3]
; %bb.121:
	v_cmp_lt_f32_e64 s[2:3], v11, v13
	s_and_b64 s[6:7], s[2:3], exec
; %bb.122:
	s_or_b64 exec, exec, s[10:11]
	s_orn2_b64 s[2:3], s[6:7], exec
.LBB15_123:
	s_or_b64 exec, exec, s[4:5]
	s_and_b64 s[6:7], s[2:3], exec
.LBB15_124:
	s_or_b64 exec, exec, s[8:9]
	s_xor_b64 s[2:3], s[6:7], -1
                                        ; implicit-def: $vgpr14
	s_and_saveexec_b64 s[4:5], s[2:3]
	s_xor_b64 s[2:3], exec, s[4:5]
; %bb.125:
	ds_read_b64 v[14:15], v15 offset:8
                                        ; implicit-def: $vgpr22
; %bb.126:
	s_andn2_saveexec_b64 s[2:3], s[2:3]
	s_cbranch_execz .LBB15_128
; %bb.127:
	ds_read_b64 v[8:9], v22 offset:8
	s_waitcnt lgkmcnt(1)
	v_mov_b32_e32 v15, v13
	v_mov_b32_e32 v14, v12
.LBB15_128:
	s_or_b64 exec, exec, s[2:3]
	v_add_u32_e32 v22, 1, v20
	v_add_u32_e32 v23, 1, v21
	v_cndmask_b32_e64 v22, v20, v22, s[6:7]
	v_cndmask_b32_e64 v23, v23, v21, s[6:7]
	v_cmp_lt_i32_e64 s[2:3], v22, v18
	s_mov_b64 s[4:5], 0
	s_and_saveexec_b64 s[8:9], s[2:3]
	s_cbranch_execz .LBB15_134
; %bb.129:
	v_cmp_lt_i32_e64 s[2:3], v23, v19
	s_waitcnt lgkmcnt(0)
	v_cmp_nlt_f32_e64 s[4:5], v8, v14
	s_and_b64 s[10:11], s[2:3], s[4:5]
	s_mov_b64 s[2:3], -1
	s_and_saveexec_b64 s[4:5], s[10:11]
	s_cbranch_execz .LBB15_133
; %bb.130:
	v_cmp_eq_f32_e64 s[2:3], v8, v14
	s_mov_b64 s[10:11], 0
	s_and_saveexec_b64 s[12:13], s[2:3]
; %bb.131:
	v_cmp_lt_f32_e64 s[2:3], v9, v15
	s_and_b64 s[10:11], s[2:3], exec
; %bb.132:
	s_or_b64 exec, exec, s[12:13]
	s_orn2_b64 s[2:3], s[10:11], exec
.LBB15_133:
	s_or_b64 exec, exec, s[4:5]
	s_and_b64 s[4:5], s[2:3], exec
.LBB15_134:
	s_or_b64 exec, exec, s[8:9]
	v_cndmask_b32_e64 v18, v21, v20, s[6:7]
	v_cndmask_b32_e64 v19, v23, v22, s[4:5]
	; wave barrier
	ds_write2_b64 v17, v[4:5], v[6:7] offset1:1
	v_lshl_add_u32 v4, v18, 3, v16
	v_lshl_add_u32 v5, v19, 3, v16
	; wave barrier
	ds_read_b64 v[6:7], v4
	ds_read_b64 v[4:5], v5
	s_and_saveexec_b64 s[2:3], vcc
	s_cbranch_execnz .LBB15_139
; %bb.135:
	s_or_b64 exec, exec, s[2:3]
	s_and_saveexec_b64 s[2:3], s[0:1]
	s_cbranch_execnz .LBB15_140
.LBB15_136:
	s_or_b64 exec, exec, s[2:3]
	s_and_saveexec_b64 s[2:3], vcc
	s_cbranch_execnz .LBB15_141
.LBB15_137:
	s_or_b64 exec, exec, s[2:3]
	s_and_saveexec_b64 s[2:3], s[0:1]
	s_cbranch_execnz .LBB15_142
.LBB15_138:
	s_endpgm
.LBB15_139:
	s_waitcnt lgkmcnt(3)
	v_cndmask_b32_e64 v10, v12, v10, s[6:7]
	v_cndmask_b32_e64 v11, v13, v11, s[6:7]
	global_store_dwordx2 v[0:1], v[10:11], off
	s_or_b64 exec, exec, s[2:3]
	s_and_saveexec_b64 s[2:3], s[0:1]
	s_cbranch_execz .LBB15_136
.LBB15_140:
	s_waitcnt lgkmcnt(3)
	v_cndmask_b32_e64 v8, v14, v8, s[4:5]
	v_cndmask_b32_e64 v9, v15, v9, s[4:5]
	global_store_dwordx2 v[0:1], v[8:9], off offset:8
	s_or_b64 exec, exec, s[2:3]
	s_and_saveexec_b64 s[2:3], vcc
	s_cbranch_execz .LBB15_137
.LBB15_141:
	s_waitcnt lgkmcnt(1)
	global_store_dwordx2 v[2:3], v[6:7], off
	s_or_b64 exec, exec, s[2:3]
	s_and_saveexec_b64 s[2:3], s[0:1]
	s_cbranch_execz .LBB15_138
.LBB15_142:
	s_waitcnt lgkmcnt(0)
	global_store_dwordx2 v[2:3], v[4:5], off offset:8
	s_endpgm
	.section	.rodata,"a",@progbits
	.p2align	6, 0x0
	.amdhsa_kernel _Z26sort_keys_values_segmentedILj256ELj32ELj2ELb0EN10test_utils16custom_test_typeIfEEyNS0_4lessEEvPT3_PT4_PKjT5_
		.amdhsa_group_segment_fixed_size 4160
		.amdhsa_private_segment_fixed_size 0
		.amdhsa_kernarg_size 28
		.amdhsa_user_sgpr_count 6
		.amdhsa_user_sgpr_private_segment_buffer 1
		.amdhsa_user_sgpr_dispatch_ptr 0
		.amdhsa_user_sgpr_queue_ptr 0
		.amdhsa_user_sgpr_kernarg_segment_ptr 1
		.amdhsa_user_sgpr_dispatch_id 0
		.amdhsa_user_sgpr_flat_scratch_init 0
		.amdhsa_user_sgpr_private_segment_size 0
		.amdhsa_uses_dynamic_stack 0
		.amdhsa_system_sgpr_private_segment_wavefront_offset 0
		.amdhsa_system_sgpr_workgroup_id_x 1
		.amdhsa_system_sgpr_workgroup_id_y 0
		.amdhsa_system_sgpr_workgroup_id_z 0
		.amdhsa_system_sgpr_workgroup_info 0
		.amdhsa_system_vgpr_workitem_id 0
		.amdhsa_next_free_vgpr 27
		.amdhsa_next_free_sgpr 16
		.amdhsa_reserve_vcc 1
		.amdhsa_reserve_flat_scratch 0
		.amdhsa_float_round_mode_32 0
		.amdhsa_float_round_mode_16_64 0
		.amdhsa_float_denorm_mode_32 3
		.amdhsa_float_denorm_mode_16_64 3
		.amdhsa_dx10_clamp 1
		.amdhsa_ieee_mode 1
		.amdhsa_fp16_overflow 0
		.amdhsa_exception_fp_ieee_invalid_op 0
		.amdhsa_exception_fp_denorm_src 0
		.amdhsa_exception_fp_ieee_div_zero 0
		.amdhsa_exception_fp_ieee_overflow 0
		.amdhsa_exception_fp_ieee_underflow 0
		.amdhsa_exception_fp_ieee_inexact 0
		.amdhsa_exception_int_div_zero 0
	.end_amdhsa_kernel
	.section	.text._Z26sort_keys_values_segmentedILj256ELj32ELj2ELb0EN10test_utils16custom_test_typeIfEEyNS0_4lessEEvPT3_PT4_PKjT5_,"axG",@progbits,_Z26sort_keys_values_segmentedILj256ELj32ELj2ELb0EN10test_utils16custom_test_typeIfEEyNS0_4lessEEvPT3_PT4_PKjT5_,comdat
.Lfunc_end15:
	.size	_Z26sort_keys_values_segmentedILj256ELj32ELj2ELb0EN10test_utils16custom_test_typeIfEEyNS0_4lessEEvPT3_PT4_PKjT5_, .Lfunc_end15-_Z26sort_keys_values_segmentedILj256ELj32ELj2ELb0EN10test_utils16custom_test_typeIfEEyNS0_4lessEEvPT3_PT4_PKjT5_
                                        ; -- End function
	.set _Z26sort_keys_values_segmentedILj256ELj32ELj2ELb0EN10test_utils16custom_test_typeIfEEyNS0_4lessEEvPT3_PT4_PKjT5_.num_vgpr, 27
	.set _Z26sort_keys_values_segmentedILj256ELj32ELj2ELb0EN10test_utils16custom_test_typeIfEEyNS0_4lessEEvPT3_PT4_PKjT5_.num_agpr, 0
	.set _Z26sort_keys_values_segmentedILj256ELj32ELj2ELb0EN10test_utils16custom_test_typeIfEEyNS0_4lessEEvPT3_PT4_PKjT5_.numbered_sgpr, 16
	.set _Z26sort_keys_values_segmentedILj256ELj32ELj2ELb0EN10test_utils16custom_test_typeIfEEyNS0_4lessEEvPT3_PT4_PKjT5_.num_named_barrier, 0
	.set _Z26sort_keys_values_segmentedILj256ELj32ELj2ELb0EN10test_utils16custom_test_typeIfEEyNS0_4lessEEvPT3_PT4_PKjT5_.private_seg_size, 0
	.set _Z26sort_keys_values_segmentedILj256ELj32ELj2ELb0EN10test_utils16custom_test_typeIfEEyNS0_4lessEEvPT3_PT4_PKjT5_.uses_vcc, 1
	.set _Z26sort_keys_values_segmentedILj256ELj32ELj2ELb0EN10test_utils16custom_test_typeIfEEyNS0_4lessEEvPT3_PT4_PKjT5_.uses_flat_scratch, 0
	.set _Z26sort_keys_values_segmentedILj256ELj32ELj2ELb0EN10test_utils16custom_test_typeIfEEyNS0_4lessEEvPT3_PT4_PKjT5_.has_dyn_sized_stack, 0
	.set _Z26sort_keys_values_segmentedILj256ELj32ELj2ELb0EN10test_utils16custom_test_typeIfEEyNS0_4lessEEvPT3_PT4_PKjT5_.has_recursion, 0
	.set _Z26sort_keys_values_segmentedILj256ELj32ELj2ELb0EN10test_utils16custom_test_typeIfEEyNS0_4lessEEvPT3_PT4_PKjT5_.has_indirect_call, 0
	.section	.AMDGPU.csdata,"",@progbits
; Kernel info:
; codeLenInByte = 4396
; TotalNumSgprs: 20
; NumVgprs: 27
; ScratchSize: 0
; MemoryBound: 1
; FloatMode: 240
; IeeeMode: 1
; LDSByteSize: 4160 bytes/workgroup (compile time only)
; SGPRBlocks: 2
; VGPRBlocks: 6
; NumSGPRsForWavesPerEU: 20
; NumVGPRsForWavesPerEU: 27
; Occupancy: 9
; WaveLimiterHint : 0
; COMPUTE_PGM_RSRC2:SCRATCH_EN: 0
; COMPUTE_PGM_RSRC2:USER_SGPR: 6
; COMPUTE_PGM_RSRC2:TRAP_HANDLER: 0
; COMPUTE_PGM_RSRC2:TGID_X_EN: 1
; COMPUTE_PGM_RSRC2:TGID_Y_EN: 0
; COMPUTE_PGM_RSRC2:TGID_Z_EN: 0
; COMPUTE_PGM_RSRC2:TIDIG_COMP_CNT: 0
	.section	.text._Z26sort_keys_values_segmentedILj32ELj32ELj1ELb0E12hip_bfloat16iN10test_utils4lessEEvPT3_PT4_PKjT5_,"axG",@progbits,_Z26sort_keys_values_segmentedILj32ELj32ELj1ELb0E12hip_bfloat16iN10test_utils4lessEEvPT3_PT4_PKjT5_,comdat
	.protected	_Z26sort_keys_values_segmentedILj32ELj32ELj1ELb0E12hip_bfloat16iN10test_utils4lessEEvPT3_PT4_PKjT5_ ; -- Begin function _Z26sort_keys_values_segmentedILj32ELj32ELj1ELb0E12hip_bfloat16iN10test_utils4lessEEvPT3_PT4_PKjT5_
	.globl	_Z26sort_keys_values_segmentedILj32ELj32ELj1ELb0E12hip_bfloat16iN10test_utils4lessEEvPT3_PT4_PKjT5_
	.p2align	8
	.type	_Z26sort_keys_values_segmentedILj32ELj32ELj1ELb0E12hip_bfloat16iN10test_utils4lessEEvPT3_PT4_PKjT5_,@function
_Z26sort_keys_values_segmentedILj32ELj32ELj1ELb0E12hip_bfloat16iN10test_utils4lessEEvPT3_PT4_PKjT5_: ; @_Z26sort_keys_values_segmentedILj32ELj32ELj1ELb0E12hip_bfloat16iN10test_utils4lessEEvPT3_PT4_PKjT5_
; %bb.0:
	s_load_dwordx2 s[0:1], s[4:5], 0x10
	s_mov_b32 s7, 0
	s_lshl_b64 s[2:3], s[6:7], 2
	v_mov_b32_e32 v0, 0
                                        ; implicit-def: $vgpr8
	s_waitcnt lgkmcnt(0)
	s_add_u32 s0, s0, s2
	s_addc_u32 s1, s1, s3
	global_load_dword v6, v0, s[0:1]
	s_load_dwordx4 s[0:3], s[4:5], 0x0
	s_lshl_b32 s6, s6, 5
	v_mbcnt_lo_u32_b32 v0, -1, 0
	s_lshl_b64 s[4:5], s[6:7], 1
	v_mbcnt_hi_u32_b32 v9, -1, v0
	s_waitcnt lgkmcnt(0)
	s_add_u32 s0, s0, s4
	v_and_b32_e32 v7, 31, v9
	s_addc_u32 s1, s1, s5
	v_mov_b32_e32 v0, s0
	v_mov_b32_e32 v1, s1
	v_lshlrev_b32_e32 v2, 1, v7
	s_waitcnt vmcnt(0)
	v_cmp_lt_u32_e32 vcc, v7, v6
	s_and_saveexec_b64 s[4:5], vcc
	s_cbranch_execz .LBB16_2
; %bb.1:
	v_add_co_u32_e64 v3, s[0:1], v0, v2
	v_addc_co_u32_e64 v4, s[0:1], 0, v1, s[0:1]
	global_load_ushort v8, v[3:4], off
.LBB16_2:
	s_or_b64 exec, exec, s[4:5]
	v_lshlrev_b64 v[3:4], 2, s[6:7]
	v_mov_b32_e32 v5, s3
	v_add_co_u32_e64 v3, s[0:1], s2, v3
	v_addc_co_u32_e64 v4, s[0:1], v5, v4, s[0:1]
	v_lshlrev_b32_e32 v5, 2, v7
                                        ; implicit-def: $vgpr10
	s_and_saveexec_b64 s[2:3], vcc
	s_cbranch_execz .LBB16_4
; %bb.3:
	v_add_co_u32_e64 v10, s[0:1], v3, v5
	v_addc_co_u32_e64 v11, s[0:1], 0, v4, s[0:1]
	global_load_dword v10, v[10:11], off
.LBB16_4:
	s_or_b64 exec, exec, s[2:3]
	; wave barrier
	s_waitcnt vmcnt(0)
	ds_write_b16 v2, v8
	v_and_b32_e32 v8, 30, v9
	v_and_b32_e32 v11, 1, v9
	v_min_i32_e32 v8, v6, v8
	v_min_i32_e32 v13, v6, v11
	v_add_u32_e32 v11, 1, v8
	v_min_i32_e32 v11, v6, v11
	v_add_u32_e32 v12, 1, v11
	v_min_i32_e32 v12, v6, v12
	v_sub_u32_e32 v14, v12, v11
	v_sub_u32_e32 v16, v11, v8
	;; [unrolled: 1-line block ×3, first 2 shown]
	v_cmp_ge_i32_e64 s[0:1], v13, v14
	v_cndmask_b32_e64 v14, 0, v17, s[0:1]
	v_min_i32_e32 v16, v13, v16
	v_lshlrev_b32_e32 v15, 1, v8
	v_cmp_lt_i32_e64 s[0:1], v14, v16
	; wave barrier
	s_and_saveexec_b64 s[2:3], s[0:1]
	s_cbranch_execz .LBB16_8
; %bb.5:
	v_lshlrev_b32_e32 v17, 1, v13
	v_lshl_add_u32 v17, v11, 1, v17
	s_mov_b64 s[4:5], 0
.LBB16_6:                               ; =>This Inner Loop Header: Depth=1
	v_sub_u32_e32 v18, v16, v14
	v_lshrrev_b32_e32 v18, 1, v18
	v_add_u32_e32 v18, v18, v14
	v_not_b32_e32 v20, v18
	v_lshl_add_u32 v19, v18, 1, v15
	v_lshl_add_u32 v20, v20, 1, v17
	ds_read_u16 v19, v19
	ds_read_u16 v20, v20
	v_add_u32_e32 v21, 1, v18
	s_waitcnt lgkmcnt(1)
	v_lshlrev_b32_e32 v19, 16, v19
	s_waitcnt lgkmcnt(0)
	v_lshlrev_b32_e32 v20, 16, v20
	v_cmp_lt_f32_e64 s[0:1], v20, v19
	v_cndmask_b32_e64 v16, v16, v18, s[0:1]
	v_cndmask_b32_e64 v14, v21, v14, s[0:1]
	v_cmp_ge_i32_e64 s[0:1], v14, v16
	s_or_b64 s[4:5], s[0:1], s[4:5]
	s_andn2_b64 exec, exec, s[4:5]
	s_cbranch_execnz .LBB16_6
; %bb.7:
	s_or_b64 exec, exec, s[4:5]
.LBB16_8:
	s_or_b64 exec, exec, s[2:3]
	v_add_u32_e32 v13, v11, v13
	v_sub_u32_e32 v13, v13, v14
	v_lshl_add_u32 v15, v14, 1, v15
	v_lshlrev_b32_e32 v16, 1, v13
	ds_read_u16 v15, v15
	ds_read_u16 v16, v16
	v_add_u32_e32 v8, v14, v8
	v_cmp_gt_i32_e64 s[0:1], v12, v13
	v_cmp_le_i32_e64 s[2:3], v11, v8
	s_waitcnt lgkmcnt(1)
	v_lshlrev_b32_e32 v11, 16, v15
	s_waitcnt lgkmcnt(0)
	v_lshlrev_b32_e32 v12, 16, v16
	v_cmp_lt_f32_e64 s[4:5], v12, v11
	s_or_b64 s[2:3], s[2:3], s[4:5]
	s_and_b64 s[0:1], s[0:1], s[2:3]
	v_cndmask_b32_e64 v12, v8, v13, s[0:1]
	v_add_u32_e32 v8, v2, v2
	v_cndmask_b32_e64 v11, v15, v16, s[0:1]
	; wave barrier
	ds_write_b32 v8, v10
	v_lshlrev_b32_e32 v10, 2, v12
	; wave barrier
	ds_read_b32 v10, v10
	; wave barrier
	ds_write_b16 v2, v11
	v_and_b32_e32 v11, 28, v9
	v_and_b32_e32 v12, 3, v9
	v_min_i32_e32 v11, v6, v11
	v_min_i32_e32 v14, v6, v12
	v_add_u32_e32 v12, 2, v11
	v_min_i32_e32 v12, v6, v12
	v_add_u32_e32 v13, 2, v12
	v_min_i32_e32 v13, v6, v13
	v_sub_u32_e32 v15, v13, v12
	v_sub_u32_e32 v17, v12, v11
	;; [unrolled: 1-line block ×3, first 2 shown]
	v_cmp_ge_i32_e64 s[0:1], v14, v15
	v_cndmask_b32_e64 v15, 0, v18, s[0:1]
	v_min_i32_e32 v17, v14, v17
	v_lshlrev_b32_e32 v16, 1, v11
	v_cmp_lt_i32_e64 s[0:1], v15, v17
	; wave barrier
	s_and_saveexec_b64 s[2:3], s[0:1]
	s_cbranch_execz .LBB16_12
; %bb.9:
	v_lshlrev_b32_e32 v18, 1, v14
	v_lshl_add_u32 v18, v12, 1, v18
	s_mov_b64 s[4:5], 0
.LBB16_10:                              ; =>This Inner Loop Header: Depth=1
	v_sub_u32_e32 v19, v17, v15
	v_lshrrev_b32_e32 v19, 1, v19
	v_add_u32_e32 v19, v19, v15
	v_not_b32_e32 v21, v19
	v_lshl_add_u32 v20, v19, 1, v16
	v_lshl_add_u32 v21, v21, 1, v18
	ds_read_u16 v20, v20
	ds_read_u16 v21, v21
	v_add_u32_e32 v22, 1, v19
	s_waitcnt lgkmcnt(1)
	v_lshlrev_b32_e32 v20, 16, v20
	s_waitcnt lgkmcnt(0)
	v_lshlrev_b32_e32 v21, 16, v21
	v_cmp_lt_f32_e64 s[0:1], v21, v20
	v_cndmask_b32_e64 v17, v17, v19, s[0:1]
	v_cndmask_b32_e64 v15, v22, v15, s[0:1]
	v_cmp_ge_i32_e64 s[0:1], v15, v17
	s_or_b64 s[4:5], s[0:1], s[4:5]
	s_andn2_b64 exec, exec, s[4:5]
	s_cbranch_execnz .LBB16_10
; %bb.11:
	s_or_b64 exec, exec, s[4:5]
.LBB16_12:
	s_or_b64 exec, exec, s[2:3]
	v_add_u32_e32 v14, v12, v14
	v_sub_u32_e32 v14, v14, v15
	v_lshl_add_u32 v16, v15, 1, v16
	v_lshlrev_b32_e32 v17, 1, v14
	ds_read_u16 v16, v16
	ds_read_u16 v17, v17
	v_add_u32_e32 v11, v15, v11
	v_cmp_gt_i32_e64 s[0:1], v13, v14
	v_cmp_le_i32_e64 s[2:3], v12, v11
	s_waitcnt lgkmcnt(1)
	v_lshlrev_b32_e32 v12, 16, v16
	s_waitcnt lgkmcnt(0)
	v_lshlrev_b32_e32 v13, 16, v17
	v_cmp_lt_f32_e64 s[4:5], v13, v12
	s_or_b64 s[2:3], s[2:3], s[4:5]
	s_and_b64 s[0:1], s[0:1], s[2:3]
	v_cndmask_b32_e64 v11, v11, v14, s[0:1]
	v_cndmask_b32_e64 v12, v16, v17, s[0:1]
	; wave barrier
	ds_write_b32 v8, v10
	v_lshlrev_b32_e32 v10, 2, v11
	v_and_b32_e32 v11, 24, v9
	; wave barrier
	ds_read_b32 v10, v10
	; wave barrier
	ds_write_b16 v2, v12
	v_and_b32_e32 v12, 7, v9
	v_min_i32_e32 v11, v6, v11
	v_min_i32_e32 v14, v6, v12
	v_add_u32_e32 v12, 4, v11
	v_min_i32_e32 v12, v6, v12
	v_add_u32_e32 v13, 4, v12
	v_min_i32_e32 v13, v6, v13
	v_sub_u32_e32 v15, v13, v12
	v_sub_u32_e32 v17, v12, v11
	;; [unrolled: 1-line block ×3, first 2 shown]
	v_cmp_ge_i32_e64 s[0:1], v14, v15
	v_cndmask_b32_e64 v15, 0, v18, s[0:1]
	v_min_i32_e32 v17, v14, v17
	v_lshlrev_b32_e32 v16, 1, v11
	v_cmp_lt_i32_e64 s[0:1], v15, v17
	; wave barrier
	s_and_saveexec_b64 s[2:3], s[0:1]
	s_cbranch_execz .LBB16_16
; %bb.13:
	v_lshlrev_b32_e32 v18, 1, v14
	v_lshl_add_u32 v18, v12, 1, v18
	s_mov_b64 s[4:5], 0
.LBB16_14:                              ; =>This Inner Loop Header: Depth=1
	v_sub_u32_e32 v19, v17, v15
	v_lshrrev_b32_e32 v19, 1, v19
	v_add_u32_e32 v19, v19, v15
	v_not_b32_e32 v21, v19
	v_lshl_add_u32 v20, v19, 1, v16
	v_lshl_add_u32 v21, v21, 1, v18
	ds_read_u16 v20, v20
	ds_read_u16 v21, v21
	v_add_u32_e32 v22, 1, v19
	s_waitcnt lgkmcnt(1)
	v_lshlrev_b32_e32 v20, 16, v20
	s_waitcnt lgkmcnt(0)
	v_lshlrev_b32_e32 v21, 16, v21
	v_cmp_lt_f32_e64 s[0:1], v21, v20
	v_cndmask_b32_e64 v17, v17, v19, s[0:1]
	v_cndmask_b32_e64 v15, v22, v15, s[0:1]
	v_cmp_ge_i32_e64 s[0:1], v15, v17
	s_or_b64 s[4:5], s[0:1], s[4:5]
	s_andn2_b64 exec, exec, s[4:5]
	s_cbranch_execnz .LBB16_14
; %bb.15:
	s_or_b64 exec, exec, s[4:5]
.LBB16_16:
	s_or_b64 exec, exec, s[2:3]
	v_add_u32_e32 v14, v12, v14
	v_sub_u32_e32 v14, v14, v15
	v_lshl_add_u32 v16, v15, 1, v16
	v_lshlrev_b32_e32 v17, 1, v14
	ds_read_u16 v16, v16
	ds_read_u16 v17, v17
	v_add_u32_e32 v11, v15, v11
	v_cmp_gt_i32_e64 s[0:1], v13, v14
	v_cmp_le_i32_e64 s[2:3], v12, v11
	s_waitcnt lgkmcnt(1)
	v_lshlrev_b32_e32 v12, 16, v16
	s_waitcnt lgkmcnt(0)
	v_lshlrev_b32_e32 v13, 16, v17
	v_cmp_lt_f32_e64 s[4:5], v13, v12
	s_or_b64 s[2:3], s[2:3], s[4:5]
	s_and_b64 s[0:1], s[0:1], s[2:3]
	v_cndmask_b32_e64 v11, v11, v14, s[0:1]
	; wave barrier
	ds_write_b32 v8, v10
	v_lshlrev_b32_e32 v10, 2, v11
	v_and_b32_e32 v11, 16, v9
	v_and_b32_e32 v9, 15, v9
	v_min_i32_e32 v13, v6, v9
	v_min_i32_e32 v9, v6, v11
	v_add_u32_e32 v11, 8, v9
	v_cndmask_b32_e64 v12, v16, v17, s[0:1]
	v_min_i32_e32 v11, v6, v11
	; wave barrier
	ds_read_b32 v10, v10
	; wave barrier
	ds_write_b16 v2, v12
	v_add_u32_e32 v12, 8, v11
	v_min_i32_e32 v12, v6, v12
	v_sub_u32_e32 v14, v12, v11
	v_sub_u32_e32 v16, v11, v9
	;; [unrolled: 1-line block ×3, first 2 shown]
	v_cmp_ge_i32_e64 s[0:1], v13, v14
	v_cndmask_b32_e64 v14, 0, v17, s[0:1]
	v_min_i32_e32 v16, v13, v16
	v_lshlrev_b32_e32 v15, 1, v9
	v_cmp_lt_i32_e64 s[0:1], v14, v16
	; wave barrier
	s_and_saveexec_b64 s[2:3], s[0:1]
	s_cbranch_execz .LBB16_20
; %bb.17:
	v_lshlrev_b32_e32 v17, 1, v13
	v_lshl_add_u32 v17, v11, 1, v17
	s_mov_b64 s[4:5], 0
.LBB16_18:                              ; =>This Inner Loop Header: Depth=1
	v_sub_u32_e32 v18, v16, v14
	v_lshrrev_b32_e32 v18, 1, v18
	v_add_u32_e32 v18, v18, v14
	v_not_b32_e32 v20, v18
	v_lshl_add_u32 v19, v18, 1, v15
	v_lshl_add_u32 v20, v20, 1, v17
	ds_read_u16 v19, v19
	ds_read_u16 v20, v20
	v_add_u32_e32 v21, 1, v18
	s_waitcnt lgkmcnt(1)
	v_lshlrev_b32_e32 v19, 16, v19
	s_waitcnt lgkmcnt(0)
	v_lshlrev_b32_e32 v20, 16, v20
	v_cmp_lt_f32_e64 s[0:1], v20, v19
	v_cndmask_b32_e64 v16, v16, v18, s[0:1]
	v_cndmask_b32_e64 v14, v21, v14, s[0:1]
	v_cmp_ge_i32_e64 s[0:1], v14, v16
	s_or_b64 s[4:5], s[0:1], s[4:5]
	s_andn2_b64 exec, exec, s[4:5]
	s_cbranch_execnz .LBB16_18
; %bb.19:
	s_or_b64 exec, exec, s[4:5]
.LBB16_20:
	s_or_b64 exec, exec, s[2:3]
	v_add_u32_e32 v13, v11, v13
	v_sub_u32_e32 v13, v13, v14
	v_lshl_add_u32 v15, v14, 1, v15
	v_lshlrev_b32_e32 v16, 1, v13
	ds_read_u16 v15, v15
	ds_read_u16 v16, v16
	v_add_u32_e32 v9, v14, v9
	v_cmp_gt_i32_e64 s[0:1], v12, v13
	v_cmp_le_i32_e64 s[2:3], v11, v9
	s_waitcnt lgkmcnt(1)
	v_lshlrev_b32_e32 v11, 16, v15
	s_waitcnt lgkmcnt(0)
	v_lshlrev_b32_e32 v12, 16, v16
	v_cmp_lt_f32_e64 s[4:5], v12, v11
	s_or_b64 s[2:3], s[2:3], s[4:5]
	s_and_b64 s[0:1], s[0:1], s[2:3]
	v_cndmask_b32_e64 v9, v9, v13, s[0:1]
	v_lshlrev_b32_e32 v9, 2, v9
	; wave barrier
	ds_write_b32 v8, v10
	; wave barrier
	ds_read_b32 v10, v9
	v_min_i32_e32 v9, 0, v6
	v_min_i32_e32 v12, v6, v7
	v_add_u32_e32 v7, 16, v9
	v_cndmask_b32_e64 v11, v15, v16, s[0:1]
	v_min_i32_e32 v7, v6, v7
	; wave barrier
	ds_write_b16 v2, v11
	v_add_u32_e32 v11, 16, v7
	v_min_i32_e32 v6, v6, v11
	v_sub_u32_e32 v11, v6, v7
	v_sub_u32_e32 v14, v7, v9
	;; [unrolled: 1-line block ×3, first 2 shown]
	v_cmp_ge_i32_e64 s[0:1], v12, v11
	v_cndmask_b32_e64 v11, 0, v15, s[0:1]
	v_min_i32_e32 v14, v12, v14
	v_lshlrev_b32_e32 v13, 1, v9
	v_cmp_lt_i32_e64 s[0:1], v11, v14
	; wave barrier
	s_and_saveexec_b64 s[2:3], s[0:1]
	s_cbranch_execz .LBB16_24
; %bb.21:
	v_lshlrev_b32_e32 v15, 1, v12
	v_lshl_add_u32 v15, v7, 1, v15
	s_mov_b64 s[4:5], 0
.LBB16_22:                              ; =>This Inner Loop Header: Depth=1
	v_sub_u32_e32 v16, v14, v11
	v_lshrrev_b32_e32 v16, 1, v16
	v_add_u32_e32 v16, v16, v11
	v_not_b32_e32 v18, v16
	v_lshl_add_u32 v17, v16, 1, v13
	v_lshl_add_u32 v18, v18, 1, v15
	ds_read_u16 v17, v17
	ds_read_u16 v18, v18
	v_add_u32_e32 v19, 1, v16
	s_waitcnt lgkmcnt(1)
	v_lshlrev_b32_e32 v17, 16, v17
	s_waitcnt lgkmcnt(0)
	v_lshlrev_b32_e32 v18, 16, v18
	v_cmp_lt_f32_e64 s[0:1], v18, v17
	v_cndmask_b32_e64 v14, v14, v16, s[0:1]
	v_cndmask_b32_e64 v11, v19, v11, s[0:1]
	v_cmp_ge_i32_e64 s[0:1], v11, v14
	s_or_b64 s[4:5], s[0:1], s[4:5]
	s_andn2_b64 exec, exec, s[4:5]
	s_cbranch_execnz .LBB16_22
; %bb.23:
	s_or_b64 exec, exec, s[4:5]
.LBB16_24:
	s_or_b64 exec, exec, s[2:3]
	v_add_u32_e32 v12, v7, v12
	v_sub_u32_e32 v12, v12, v11
	v_lshl_add_u32 v13, v11, 1, v13
	v_lshlrev_b32_e32 v14, 1, v12
	ds_read_u16 v13, v13
	ds_read_u16 v14, v14
	; wave barrier
	s_waitcnt lgkmcnt(3)
	ds_write_b32 v8, v10
	; wave barrier
	s_and_saveexec_b64 s[0:1], vcc
	s_cbranch_execz .LBB16_26
; %bb.25:
	v_add_co_u32_e32 v0, vcc, v0, v2
	v_addc_co_u32_e32 v1, vcc, 0, v1, vcc
	v_add_u32_e32 v8, v11, v9
	v_cmp_gt_i32_e32 vcc, v6, v12
	s_waitcnt lgkmcnt(1)
	v_lshlrev_b32_e32 v2, 16, v14
	v_lshlrev_b32_e32 v6, 16, v13
	v_cmp_le_i32_e64 s[0:1], v7, v8
	v_cmp_lt_f32_e64 s[2:3], v2, v6
	s_or_b64 s[0:1], s[0:1], s[2:3]
	s_and_b64 vcc, vcc, s[0:1]
	v_cndmask_b32_e32 v2, v8, v12, vcc
	v_lshlrev_b32_e32 v2, 2, v2
	ds_read_b32 v2, v2
	v_cndmask_b32_e32 v6, v13, v14, vcc
	global_store_short v[0:1], v6, off
	v_add_co_u32_e32 v0, vcc, v3, v5
	v_addc_co_u32_e32 v1, vcc, 0, v4, vcc
	s_waitcnt lgkmcnt(0)
	global_store_dword v[0:1], v2, off
.LBB16_26:
	s_endpgm
	.section	.rodata,"a",@progbits
	.p2align	6, 0x0
	.amdhsa_kernel _Z26sort_keys_values_segmentedILj32ELj32ELj1ELb0E12hip_bfloat16iN10test_utils4lessEEvPT3_PT4_PKjT5_
		.amdhsa_group_segment_fixed_size 132
		.amdhsa_private_segment_fixed_size 0
		.amdhsa_kernarg_size 28
		.amdhsa_user_sgpr_count 6
		.amdhsa_user_sgpr_private_segment_buffer 1
		.amdhsa_user_sgpr_dispatch_ptr 0
		.amdhsa_user_sgpr_queue_ptr 0
		.amdhsa_user_sgpr_kernarg_segment_ptr 1
		.amdhsa_user_sgpr_dispatch_id 0
		.amdhsa_user_sgpr_flat_scratch_init 0
		.amdhsa_user_sgpr_private_segment_size 0
		.amdhsa_uses_dynamic_stack 0
		.amdhsa_system_sgpr_private_segment_wavefront_offset 0
		.amdhsa_system_sgpr_workgroup_id_x 1
		.amdhsa_system_sgpr_workgroup_id_y 0
		.amdhsa_system_sgpr_workgroup_id_z 0
		.amdhsa_system_sgpr_workgroup_info 0
		.amdhsa_system_vgpr_workitem_id 0
		.amdhsa_next_free_vgpr 23
		.amdhsa_next_free_sgpr 8
		.amdhsa_reserve_vcc 1
		.amdhsa_reserve_flat_scratch 0
		.amdhsa_float_round_mode_32 0
		.amdhsa_float_round_mode_16_64 0
		.amdhsa_float_denorm_mode_32 3
		.amdhsa_float_denorm_mode_16_64 3
		.amdhsa_dx10_clamp 1
		.amdhsa_ieee_mode 1
		.amdhsa_fp16_overflow 0
		.amdhsa_exception_fp_ieee_invalid_op 0
		.amdhsa_exception_fp_denorm_src 0
		.amdhsa_exception_fp_ieee_div_zero 0
		.amdhsa_exception_fp_ieee_overflow 0
		.amdhsa_exception_fp_ieee_underflow 0
		.amdhsa_exception_fp_ieee_inexact 0
		.amdhsa_exception_int_div_zero 0
	.end_amdhsa_kernel
	.section	.text._Z26sort_keys_values_segmentedILj32ELj32ELj1ELb0E12hip_bfloat16iN10test_utils4lessEEvPT3_PT4_PKjT5_,"axG",@progbits,_Z26sort_keys_values_segmentedILj32ELj32ELj1ELb0E12hip_bfloat16iN10test_utils4lessEEvPT3_PT4_PKjT5_,comdat
.Lfunc_end16:
	.size	_Z26sort_keys_values_segmentedILj32ELj32ELj1ELb0E12hip_bfloat16iN10test_utils4lessEEvPT3_PT4_PKjT5_, .Lfunc_end16-_Z26sort_keys_values_segmentedILj32ELj32ELj1ELb0E12hip_bfloat16iN10test_utils4lessEEvPT3_PT4_PKjT5_
                                        ; -- End function
	.set _Z26sort_keys_values_segmentedILj32ELj32ELj1ELb0E12hip_bfloat16iN10test_utils4lessEEvPT3_PT4_PKjT5_.num_vgpr, 23
	.set _Z26sort_keys_values_segmentedILj32ELj32ELj1ELb0E12hip_bfloat16iN10test_utils4lessEEvPT3_PT4_PKjT5_.num_agpr, 0
	.set _Z26sort_keys_values_segmentedILj32ELj32ELj1ELb0E12hip_bfloat16iN10test_utils4lessEEvPT3_PT4_PKjT5_.numbered_sgpr, 8
	.set _Z26sort_keys_values_segmentedILj32ELj32ELj1ELb0E12hip_bfloat16iN10test_utils4lessEEvPT3_PT4_PKjT5_.num_named_barrier, 0
	.set _Z26sort_keys_values_segmentedILj32ELj32ELj1ELb0E12hip_bfloat16iN10test_utils4lessEEvPT3_PT4_PKjT5_.private_seg_size, 0
	.set _Z26sort_keys_values_segmentedILj32ELj32ELj1ELb0E12hip_bfloat16iN10test_utils4lessEEvPT3_PT4_PKjT5_.uses_vcc, 1
	.set _Z26sort_keys_values_segmentedILj32ELj32ELj1ELb0E12hip_bfloat16iN10test_utils4lessEEvPT3_PT4_PKjT5_.uses_flat_scratch, 0
	.set _Z26sort_keys_values_segmentedILj32ELj32ELj1ELb0E12hip_bfloat16iN10test_utils4lessEEvPT3_PT4_PKjT5_.has_dyn_sized_stack, 0
	.set _Z26sort_keys_values_segmentedILj32ELj32ELj1ELb0E12hip_bfloat16iN10test_utils4lessEEvPT3_PT4_PKjT5_.has_recursion, 0
	.set _Z26sort_keys_values_segmentedILj32ELj32ELj1ELb0E12hip_bfloat16iN10test_utils4lessEEvPT3_PT4_PKjT5_.has_indirect_call, 0
	.section	.AMDGPU.csdata,"",@progbits
; Kernel info:
; codeLenInByte = 2008
; TotalNumSgprs: 12
; NumVgprs: 23
; ScratchSize: 0
; MemoryBound: 0
; FloatMode: 240
; IeeeMode: 1
; LDSByteSize: 132 bytes/workgroup (compile time only)
; SGPRBlocks: 1
; VGPRBlocks: 5
; NumSGPRsForWavesPerEU: 12
; NumVGPRsForWavesPerEU: 23
; Occupancy: 10
; WaveLimiterHint : 0
; COMPUTE_PGM_RSRC2:SCRATCH_EN: 0
; COMPUTE_PGM_RSRC2:USER_SGPR: 6
; COMPUTE_PGM_RSRC2:TRAP_HANDLER: 0
; COMPUTE_PGM_RSRC2:TGID_X_EN: 1
; COMPUTE_PGM_RSRC2:TGID_Y_EN: 0
; COMPUTE_PGM_RSRC2:TGID_Z_EN: 0
; COMPUTE_PGM_RSRC2:TIDIG_COMP_CNT: 0
	.section	.text._Z26sort_keys_values_segmentedILj32ELj32ELj1ELb0E6__halfiN10test_utils4lessEEvPT3_PT4_PKjT5_,"axG",@progbits,_Z26sort_keys_values_segmentedILj32ELj32ELj1ELb0E6__halfiN10test_utils4lessEEvPT3_PT4_PKjT5_,comdat
	.protected	_Z26sort_keys_values_segmentedILj32ELj32ELj1ELb0E6__halfiN10test_utils4lessEEvPT3_PT4_PKjT5_ ; -- Begin function _Z26sort_keys_values_segmentedILj32ELj32ELj1ELb0E6__halfiN10test_utils4lessEEvPT3_PT4_PKjT5_
	.globl	_Z26sort_keys_values_segmentedILj32ELj32ELj1ELb0E6__halfiN10test_utils4lessEEvPT3_PT4_PKjT5_
	.p2align	8
	.type	_Z26sort_keys_values_segmentedILj32ELj32ELj1ELb0E6__halfiN10test_utils4lessEEvPT3_PT4_PKjT5_,@function
_Z26sort_keys_values_segmentedILj32ELj32ELj1ELb0E6__halfiN10test_utils4lessEEvPT3_PT4_PKjT5_: ; @_Z26sort_keys_values_segmentedILj32ELj32ELj1ELb0E6__halfiN10test_utils4lessEEvPT3_PT4_PKjT5_
; %bb.0:
	s_load_dwordx2 s[0:1], s[4:5], 0x10
	s_mov_b32 s7, 0
	s_lshl_b64 s[2:3], s[6:7], 2
	v_mov_b32_e32 v0, 0
                                        ; implicit-def: $vgpr8
	s_waitcnt lgkmcnt(0)
	s_add_u32 s0, s0, s2
	s_addc_u32 s1, s1, s3
	global_load_dword v6, v0, s[0:1]
	s_load_dwordx4 s[0:3], s[4:5], 0x0
	s_lshl_b32 s6, s6, 5
	v_mbcnt_lo_u32_b32 v0, -1, 0
	s_lshl_b64 s[4:5], s[6:7], 1
	v_mbcnt_hi_u32_b32 v9, -1, v0
	s_waitcnt lgkmcnt(0)
	s_add_u32 s0, s0, s4
	v_and_b32_e32 v7, 31, v9
	s_addc_u32 s1, s1, s5
	v_mov_b32_e32 v0, s0
	v_mov_b32_e32 v1, s1
	v_lshlrev_b32_e32 v2, 1, v7
	s_waitcnt vmcnt(0)
	v_cmp_lt_u32_e32 vcc, v7, v6
	s_and_saveexec_b64 s[4:5], vcc
	s_cbranch_execz .LBB17_2
; %bb.1:
	v_add_co_u32_e64 v3, s[0:1], v0, v2
	v_addc_co_u32_e64 v4, s[0:1], 0, v1, s[0:1]
	global_load_ushort v8, v[3:4], off
.LBB17_2:
	s_or_b64 exec, exec, s[4:5]
	v_lshlrev_b64 v[3:4], 2, s[6:7]
	v_mov_b32_e32 v5, s3
	v_add_co_u32_e64 v3, s[0:1], s2, v3
	v_addc_co_u32_e64 v4, s[0:1], v5, v4, s[0:1]
	v_lshlrev_b32_e32 v5, 2, v7
                                        ; implicit-def: $vgpr10
	s_and_saveexec_b64 s[2:3], vcc
	s_cbranch_execz .LBB17_4
; %bb.3:
	v_add_co_u32_e64 v10, s[0:1], v3, v5
	v_addc_co_u32_e64 v11, s[0:1], 0, v4, s[0:1]
	global_load_dword v10, v[10:11], off
.LBB17_4:
	s_or_b64 exec, exec, s[2:3]
	; wave barrier
	s_waitcnt vmcnt(0)
	ds_write_b16 v2, v8
	v_and_b32_e32 v8, 30, v9
	v_and_b32_e32 v11, 1, v9
	v_min_i32_e32 v8, v6, v8
	v_min_i32_e32 v13, v6, v11
	v_add_u32_e32 v11, 1, v8
	v_min_i32_e32 v11, v6, v11
	v_add_u32_e32 v12, 1, v11
	v_min_i32_e32 v12, v6, v12
	v_sub_u32_e32 v14, v12, v11
	v_sub_u32_e32 v16, v11, v8
	;; [unrolled: 1-line block ×3, first 2 shown]
	v_cmp_ge_i32_e64 s[0:1], v13, v14
	v_cndmask_b32_e64 v14, 0, v17, s[0:1]
	v_min_i32_e32 v16, v13, v16
	v_lshlrev_b32_e32 v15, 1, v8
	v_cmp_lt_i32_e64 s[0:1], v14, v16
	; wave barrier
	s_and_saveexec_b64 s[2:3], s[0:1]
	s_cbranch_execz .LBB17_8
; %bb.5:
	v_lshlrev_b32_e32 v17, 1, v13
	v_lshl_add_u32 v17, v11, 1, v17
	s_mov_b64 s[4:5], 0
.LBB17_6:                               ; =>This Inner Loop Header: Depth=1
	v_sub_u32_e32 v18, v16, v14
	v_lshrrev_b32_e32 v18, 1, v18
	v_add_u32_e32 v18, v18, v14
	v_not_b32_e32 v20, v18
	v_lshl_add_u32 v19, v18, 1, v15
	v_lshl_add_u32 v20, v20, 1, v17
	ds_read_u16 v19, v19
	ds_read_u16 v20, v20
	v_add_u32_e32 v21, 1, v18
	s_waitcnt lgkmcnt(0)
	v_cmp_lt_f16_e64 s[0:1], v20, v19
	v_cndmask_b32_e64 v16, v16, v18, s[0:1]
	v_cndmask_b32_e64 v14, v21, v14, s[0:1]
	v_cmp_ge_i32_e64 s[0:1], v14, v16
	s_or_b64 s[4:5], s[0:1], s[4:5]
	s_andn2_b64 exec, exec, s[4:5]
	s_cbranch_execnz .LBB17_6
; %bb.7:
	s_or_b64 exec, exec, s[4:5]
.LBB17_8:
	s_or_b64 exec, exec, s[2:3]
	v_add_u32_e32 v13, v11, v13
	v_sub_u32_e32 v13, v13, v14
	v_lshl_add_u32 v15, v14, 1, v15
	v_lshlrev_b32_e32 v16, 1, v13
	ds_read_u16 v15, v15
	ds_read_u16 v16, v16
	v_add_u32_e32 v8, v14, v8
	v_cmp_le_i32_e64 s[2:3], v11, v8
	v_cmp_gt_i32_e64 s[0:1], v12, v13
	s_waitcnt lgkmcnt(0)
	v_cmp_lt_f16_e64 s[4:5], v16, v15
	s_or_b64 s[2:3], s[2:3], s[4:5]
	s_and_b64 s[0:1], s[0:1], s[2:3]
	v_cndmask_b32_e64 v12, v8, v13, s[0:1]
	v_add_u32_e32 v8, v2, v2
	v_cndmask_b32_e64 v11, v15, v16, s[0:1]
	; wave barrier
	ds_write_b32 v8, v10
	v_lshlrev_b32_e32 v10, 2, v12
	; wave barrier
	ds_read_b32 v10, v10
	; wave barrier
	ds_write_b16 v2, v11
	v_and_b32_e32 v11, 28, v9
	v_and_b32_e32 v12, 3, v9
	v_min_i32_e32 v11, v6, v11
	v_min_i32_e32 v14, v6, v12
	v_add_u32_e32 v12, 2, v11
	v_min_i32_e32 v12, v6, v12
	v_add_u32_e32 v13, 2, v12
	v_min_i32_e32 v13, v6, v13
	v_sub_u32_e32 v15, v13, v12
	v_sub_u32_e32 v17, v12, v11
	;; [unrolled: 1-line block ×3, first 2 shown]
	v_cmp_ge_i32_e64 s[0:1], v14, v15
	v_cndmask_b32_e64 v15, 0, v18, s[0:1]
	v_min_i32_e32 v17, v14, v17
	v_lshlrev_b32_e32 v16, 1, v11
	v_cmp_lt_i32_e64 s[0:1], v15, v17
	; wave barrier
	s_and_saveexec_b64 s[2:3], s[0:1]
	s_cbranch_execz .LBB17_12
; %bb.9:
	v_lshlrev_b32_e32 v18, 1, v14
	v_lshl_add_u32 v18, v12, 1, v18
	s_mov_b64 s[4:5], 0
.LBB17_10:                              ; =>This Inner Loop Header: Depth=1
	v_sub_u32_e32 v19, v17, v15
	v_lshrrev_b32_e32 v19, 1, v19
	v_add_u32_e32 v19, v19, v15
	v_not_b32_e32 v21, v19
	v_lshl_add_u32 v20, v19, 1, v16
	v_lshl_add_u32 v21, v21, 1, v18
	ds_read_u16 v20, v20
	ds_read_u16 v21, v21
	v_add_u32_e32 v22, 1, v19
	s_waitcnt lgkmcnt(0)
	v_cmp_lt_f16_e64 s[0:1], v21, v20
	v_cndmask_b32_e64 v17, v17, v19, s[0:1]
	v_cndmask_b32_e64 v15, v22, v15, s[0:1]
	v_cmp_ge_i32_e64 s[0:1], v15, v17
	s_or_b64 s[4:5], s[0:1], s[4:5]
	s_andn2_b64 exec, exec, s[4:5]
	s_cbranch_execnz .LBB17_10
; %bb.11:
	s_or_b64 exec, exec, s[4:5]
.LBB17_12:
	s_or_b64 exec, exec, s[2:3]
	v_add_u32_e32 v14, v12, v14
	v_sub_u32_e32 v14, v14, v15
	v_lshl_add_u32 v16, v15, 1, v16
	v_lshlrev_b32_e32 v17, 1, v14
	ds_read_u16 v16, v16
	ds_read_u16 v17, v17
	v_add_u32_e32 v11, v15, v11
	v_cmp_le_i32_e64 s[2:3], v12, v11
	v_cmp_gt_i32_e64 s[0:1], v13, v14
	s_waitcnt lgkmcnt(0)
	v_cmp_lt_f16_e64 s[4:5], v17, v16
	s_or_b64 s[2:3], s[2:3], s[4:5]
	s_and_b64 s[0:1], s[0:1], s[2:3]
	v_cndmask_b32_e64 v11, v11, v14, s[0:1]
	v_cndmask_b32_e64 v12, v16, v17, s[0:1]
	; wave barrier
	ds_write_b32 v8, v10
	v_lshlrev_b32_e32 v10, 2, v11
	v_and_b32_e32 v11, 24, v9
	; wave barrier
	ds_read_b32 v10, v10
	; wave barrier
	ds_write_b16 v2, v12
	v_and_b32_e32 v12, 7, v9
	v_min_i32_e32 v11, v6, v11
	v_min_i32_e32 v14, v6, v12
	v_add_u32_e32 v12, 4, v11
	v_min_i32_e32 v12, v6, v12
	v_add_u32_e32 v13, 4, v12
	v_min_i32_e32 v13, v6, v13
	v_sub_u32_e32 v15, v13, v12
	v_sub_u32_e32 v17, v12, v11
	;; [unrolled: 1-line block ×3, first 2 shown]
	v_cmp_ge_i32_e64 s[0:1], v14, v15
	v_cndmask_b32_e64 v15, 0, v18, s[0:1]
	v_min_i32_e32 v17, v14, v17
	v_lshlrev_b32_e32 v16, 1, v11
	v_cmp_lt_i32_e64 s[0:1], v15, v17
	; wave barrier
	s_and_saveexec_b64 s[2:3], s[0:1]
	s_cbranch_execz .LBB17_16
; %bb.13:
	v_lshlrev_b32_e32 v18, 1, v14
	v_lshl_add_u32 v18, v12, 1, v18
	s_mov_b64 s[4:5], 0
.LBB17_14:                              ; =>This Inner Loop Header: Depth=1
	v_sub_u32_e32 v19, v17, v15
	v_lshrrev_b32_e32 v19, 1, v19
	v_add_u32_e32 v19, v19, v15
	v_not_b32_e32 v21, v19
	v_lshl_add_u32 v20, v19, 1, v16
	v_lshl_add_u32 v21, v21, 1, v18
	ds_read_u16 v20, v20
	ds_read_u16 v21, v21
	v_add_u32_e32 v22, 1, v19
	s_waitcnt lgkmcnt(0)
	v_cmp_lt_f16_e64 s[0:1], v21, v20
	v_cndmask_b32_e64 v17, v17, v19, s[0:1]
	v_cndmask_b32_e64 v15, v22, v15, s[0:1]
	v_cmp_ge_i32_e64 s[0:1], v15, v17
	s_or_b64 s[4:5], s[0:1], s[4:5]
	s_andn2_b64 exec, exec, s[4:5]
	s_cbranch_execnz .LBB17_14
; %bb.15:
	s_or_b64 exec, exec, s[4:5]
.LBB17_16:
	s_or_b64 exec, exec, s[2:3]
	v_add_u32_e32 v14, v12, v14
	v_sub_u32_e32 v14, v14, v15
	v_lshl_add_u32 v16, v15, 1, v16
	v_lshlrev_b32_e32 v17, 1, v14
	ds_read_u16 v16, v16
	ds_read_u16 v17, v17
	v_add_u32_e32 v11, v15, v11
	v_cmp_le_i32_e64 s[2:3], v12, v11
	v_cmp_gt_i32_e64 s[0:1], v13, v14
	s_waitcnt lgkmcnt(0)
	v_cmp_lt_f16_e64 s[4:5], v17, v16
	s_or_b64 s[2:3], s[2:3], s[4:5]
	s_and_b64 s[0:1], s[0:1], s[2:3]
	v_cndmask_b32_e64 v11, v11, v14, s[0:1]
	; wave barrier
	ds_write_b32 v8, v10
	v_lshlrev_b32_e32 v10, 2, v11
	v_and_b32_e32 v11, 16, v9
	v_and_b32_e32 v9, 15, v9
	v_min_i32_e32 v13, v6, v9
	v_min_i32_e32 v9, v6, v11
	v_add_u32_e32 v11, 8, v9
	v_cndmask_b32_e64 v12, v16, v17, s[0:1]
	v_min_i32_e32 v11, v6, v11
	; wave barrier
	ds_read_b32 v10, v10
	; wave barrier
	ds_write_b16 v2, v12
	v_add_u32_e32 v12, 8, v11
	v_min_i32_e32 v12, v6, v12
	v_sub_u32_e32 v14, v12, v11
	v_sub_u32_e32 v16, v11, v9
	;; [unrolled: 1-line block ×3, first 2 shown]
	v_cmp_ge_i32_e64 s[0:1], v13, v14
	v_cndmask_b32_e64 v14, 0, v17, s[0:1]
	v_min_i32_e32 v16, v13, v16
	v_lshlrev_b32_e32 v15, 1, v9
	v_cmp_lt_i32_e64 s[0:1], v14, v16
	; wave barrier
	s_and_saveexec_b64 s[2:3], s[0:1]
	s_cbranch_execz .LBB17_20
; %bb.17:
	v_lshlrev_b32_e32 v17, 1, v13
	v_lshl_add_u32 v17, v11, 1, v17
	s_mov_b64 s[4:5], 0
.LBB17_18:                              ; =>This Inner Loop Header: Depth=1
	v_sub_u32_e32 v18, v16, v14
	v_lshrrev_b32_e32 v18, 1, v18
	v_add_u32_e32 v18, v18, v14
	v_not_b32_e32 v20, v18
	v_lshl_add_u32 v19, v18, 1, v15
	v_lshl_add_u32 v20, v20, 1, v17
	ds_read_u16 v19, v19
	ds_read_u16 v20, v20
	v_add_u32_e32 v21, 1, v18
	s_waitcnt lgkmcnt(0)
	v_cmp_lt_f16_e64 s[0:1], v20, v19
	v_cndmask_b32_e64 v16, v16, v18, s[0:1]
	v_cndmask_b32_e64 v14, v21, v14, s[0:1]
	v_cmp_ge_i32_e64 s[0:1], v14, v16
	s_or_b64 s[4:5], s[0:1], s[4:5]
	s_andn2_b64 exec, exec, s[4:5]
	s_cbranch_execnz .LBB17_18
; %bb.19:
	s_or_b64 exec, exec, s[4:5]
.LBB17_20:
	s_or_b64 exec, exec, s[2:3]
	v_add_u32_e32 v13, v11, v13
	v_sub_u32_e32 v13, v13, v14
	v_lshl_add_u32 v15, v14, 1, v15
	v_lshlrev_b32_e32 v16, 1, v13
	ds_read_u16 v15, v15
	ds_read_u16 v16, v16
	v_add_u32_e32 v9, v14, v9
	v_cmp_le_i32_e64 s[2:3], v11, v9
	v_cmp_gt_i32_e64 s[0:1], v12, v13
	s_waitcnt lgkmcnt(0)
	v_cmp_lt_f16_e64 s[4:5], v16, v15
	s_or_b64 s[2:3], s[2:3], s[4:5]
	s_and_b64 s[0:1], s[0:1], s[2:3]
	v_cndmask_b32_e64 v9, v9, v13, s[0:1]
	v_lshlrev_b32_e32 v9, 2, v9
	; wave barrier
	ds_write_b32 v8, v10
	; wave barrier
	ds_read_b32 v10, v9
	v_min_i32_e32 v9, 0, v6
	v_min_i32_e32 v12, v6, v7
	v_add_u32_e32 v7, 16, v9
	v_cndmask_b32_e64 v11, v15, v16, s[0:1]
	v_min_i32_e32 v7, v6, v7
	; wave barrier
	ds_write_b16 v2, v11
	v_add_u32_e32 v11, 16, v7
	v_min_i32_e32 v6, v6, v11
	v_sub_u32_e32 v11, v6, v7
	v_sub_u32_e32 v14, v7, v9
	;; [unrolled: 1-line block ×3, first 2 shown]
	v_cmp_ge_i32_e64 s[0:1], v12, v11
	v_cndmask_b32_e64 v11, 0, v15, s[0:1]
	v_min_i32_e32 v14, v12, v14
	v_lshlrev_b32_e32 v13, 1, v9
	v_cmp_lt_i32_e64 s[0:1], v11, v14
	; wave barrier
	s_and_saveexec_b64 s[2:3], s[0:1]
	s_cbranch_execz .LBB17_24
; %bb.21:
	v_lshlrev_b32_e32 v15, 1, v12
	v_lshl_add_u32 v15, v7, 1, v15
	s_mov_b64 s[4:5], 0
.LBB17_22:                              ; =>This Inner Loop Header: Depth=1
	v_sub_u32_e32 v16, v14, v11
	v_lshrrev_b32_e32 v16, 1, v16
	v_add_u32_e32 v16, v16, v11
	v_not_b32_e32 v18, v16
	v_lshl_add_u32 v17, v16, 1, v13
	v_lshl_add_u32 v18, v18, 1, v15
	ds_read_u16 v17, v17
	ds_read_u16 v18, v18
	v_add_u32_e32 v19, 1, v16
	s_waitcnt lgkmcnt(0)
	v_cmp_lt_f16_e64 s[0:1], v18, v17
	v_cndmask_b32_e64 v14, v14, v16, s[0:1]
	v_cndmask_b32_e64 v11, v19, v11, s[0:1]
	v_cmp_ge_i32_e64 s[0:1], v11, v14
	s_or_b64 s[4:5], s[0:1], s[4:5]
	s_andn2_b64 exec, exec, s[4:5]
	s_cbranch_execnz .LBB17_22
; %bb.23:
	s_or_b64 exec, exec, s[4:5]
.LBB17_24:
	s_or_b64 exec, exec, s[2:3]
	v_add_u32_e32 v12, v7, v12
	v_sub_u32_e32 v12, v12, v11
	v_lshl_add_u32 v13, v11, 1, v13
	v_lshlrev_b32_e32 v14, 1, v12
	ds_read_u16 v13, v13
	ds_read_u16 v14, v14
	; wave barrier
	s_waitcnt lgkmcnt(3)
	ds_write_b32 v8, v10
	; wave barrier
	s_and_saveexec_b64 s[0:1], vcc
	s_cbranch_execz .LBB17_26
; %bb.25:
	v_add_u32_e32 v8, v11, v9
	v_add_co_u32_e32 v0, vcc, v0, v2
	v_addc_co_u32_e32 v1, vcc, 0, v1, vcc
	v_cmp_le_i32_e64 s[0:1], v7, v8
	s_waitcnt lgkmcnt(1)
	v_cmp_lt_f16_e64 s[2:3], v14, v13
	v_cmp_gt_i32_e32 vcc, v6, v12
	s_or_b64 s[0:1], s[0:1], s[2:3]
	s_and_b64 vcc, vcc, s[0:1]
	v_cndmask_b32_e32 v2, v8, v12, vcc
	v_lshlrev_b32_e32 v2, 2, v2
	ds_read_b32 v2, v2
	v_cndmask_b32_e32 v6, v13, v14, vcc
	global_store_short v[0:1], v6, off
	v_add_co_u32_e32 v0, vcc, v3, v5
	v_addc_co_u32_e32 v1, vcc, 0, v4, vcc
	s_waitcnt lgkmcnt(0)
	global_store_dword v[0:1], v2, off
.LBB17_26:
	s_endpgm
	.section	.rodata,"a",@progbits
	.p2align	6, 0x0
	.amdhsa_kernel _Z26sort_keys_values_segmentedILj32ELj32ELj1ELb0E6__halfiN10test_utils4lessEEvPT3_PT4_PKjT5_
		.amdhsa_group_segment_fixed_size 132
		.amdhsa_private_segment_fixed_size 0
		.amdhsa_kernarg_size 28
		.amdhsa_user_sgpr_count 6
		.amdhsa_user_sgpr_private_segment_buffer 1
		.amdhsa_user_sgpr_dispatch_ptr 0
		.amdhsa_user_sgpr_queue_ptr 0
		.amdhsa_user_sgpr_kernarg_segment_ptr 1
		.amdhsa_user_sgpr_dispatch_id 0
		.amdhsa_user_sgpr_flat_scratch_init 0
		.amdhsa_user_sgpr_private_segment_size 0
		.amdhsa_uses_dynamic_stack 0
		.amdhsa_system_sgpr_private_segment_wavefront_offset 0
		.amdhsa_system_sgpr_workgroup_id_x 1
		.amdhsa_system_sgpr_workgroup_id_y 0
		.amdhsa_system_sgpr_workgroup_id_z 0
		.amdhsa_system_sgpr_workgroup_info 0
		.amdhsa_system_vgpr_workitem_id 0
		.amdhsa_next_free_vgpr 23
		.amdhsa_next_free_sgpr 8
		.amdhsa_reserve_vcc 1
		.amdhsa_reserve_flat_scratch 0
		.amdhsa_float_round_mode_32 0
		.amdhsa_float_round_mode_16_64 0
		.amdhsa_float_denorm_mode_32 3
		.amdhsa_float_denorm_mode_16_64 3
		.amdhsa_dx10_clamp 1
		.amdhsa_ieee_mode 1
		.amdhsa_fp16_overflow 0
		.amdhsa_exception_fp_ieee_invalid_op 0
		.amdhsa_exception_fp_denorm_src 0
		.amdhsa_exception_fp_ieee_div_zero 0
		.amdhsa_exception_fp_ieee_overflow 0
		.amdhsa_exception_fp_ieee_underflow 0
		.amdhsa_exception_fp_ieee_inexact 0
		.amdhsa_exception_int_div_zero 0
	.end_amdhsa_kernel
	.section	.text._Z26sort_keys_values_segmentedILj32ELj32ELj1ELb0E6__halfiN10test_utils4lessEEvPT3_PT4_PKjT5_,"axG",@progbits,_Z26sort_keys_values_segmentedILj32ELj32ELj1ELb0E6__halfiN10test_utils4lessEEvPT3_PT4_PKjT5_,comdat
.Lfunc_end17:
	.size	_Z26sort_keys_values_segmentedILj32ELj32ELj1ELb0E6__halfiN10test_utils4lessEEvPT3_PT4_PKjT5_, .Lfunc_end17-_Z26sort_keys_values_segmentedILj32ELj32ELj1ELb0E6__halfiN10test_utils4lessEEvPT3_PT4_PKjT5_
                                        ; -- End function
	.set _Z26sort_keys_values_segmentedILj32ELj32ELj1ELb0E6__halfiN10test_utils4lessEEvPT3_PT4_PKjT5_.num_vgpr, 23
	.set _Z26sort_keys_values_segmentedILj32ELj32ELj1ELb0E6__halfiN10test_utils4lessEEvPT3_PT4_PKjT5_.num_agpr, 0
	.set _Z26sort_keys_values_segmentedILj32ELj32ELj1ELb0E6__halfiN10test_utils4lessEEvPT3_PT4_PKjT5_.numbered_sgpr, 8
	.set _Z26sort_keys_values_segmentedILj32ELj32ELj1ELb0E6__halfiN10test_utils4lessEEvPT3_PT4_PKjT5_.num_named_barrier, 0
	.set _Z26sort_keys_values_segmentedILj32ELj32ELj1ELb0E6__halfiN10test_utils4lessEEvPT3_PT4_PKjT5_.private_seg_size, 0
	.set _Z26sort_keys_values_segmentedILj32ELj32ELj1ELb0E6__halfiN10test_utils4lessEEvPT3_PT4_PKjT5_.uses_vcc, 1
	.set _Z26sort_keys_values_segmentedILj32ELj32ELj1ELb0E6__halfiN10test_utils4lessEEvPT3_PT4_PKjT5_.uses_flat_scratch, 0
	.set _Z26sort_keys_values_segmentedILj32ELj32ELj1ELb0E6__halfiN10test_utils4lessEEvPT3_PT4_PKjT5_.has_dyn_sized_stack, 0
	.set _Z26sort_keys_values_segmentedILj32ELj32ELj1ELb0E6__halfiN10test_utils4lessEEvPT3_PT4_PKjT5_.has_recursion, 0
	.set _Z26sort_keys_values_segmentedILj32ELj32ELj1ELb0E6__halfiN10test_utils4lessEEvPT3_PT4_PKjT5_.has_indirect_call, 0
	.section	.AMDGPU.csdata,"",@progbits
; Kernel info:
; codeLenInByte = 1892
; TotalNumSgprs: 12
; NumVgprs: 23
; ScratchSize: 0
; MemoryBound: 0
; FloatMode: 240
; IeeeMode: 1
; LDSByteSize: 132 bytes/workgroup (compile time only)
; SGPRBlocks: 1
; VGPRBlocks: 5
; NumSGPRsForWavesPerEU: 12
; NumVGPRsForWavesPerEU: 23
; Occupancy: 10
; WaveLimiterHint : 0
; COMPUTE_PGM_RSRC2:SCRATCH_EN: 0
; COMPUTE_PGM_RSRC2:USER_SGPR: 6
; COMPUTE_PGM_RSRC2:TRAP_HANDLER: 0
; COMPUTE_PGM_RSRC2:TGID_X_EN: 1
; COMPUTE_PGM_RSRC2:TGID_Y_EN: 0
; COMPUTE_PGM_RSRC2:TGID_Z_EN: 0
; COMPUTE_PGM_RSRC2:TIDIG_COMP_CNT: 0
	.section	.text._Z26sort_keys_values_segmentedILj512ELj64ELj1ELb0EsiN10test_utils4lessEEvPT3_PT4_PKjT5_,"axG",@progbits,_Z26sort_keys_values_segmentedILj512ELj64ELj1ELb0EsiN10test_utils4lessEEvPT3_PT4_PKjT5_,comdat
	.protected	_Z26sort_keys_values_segmentedILj512ELj64ELj1ELb0EsiN10test_utils4lessEEvPT3_PT4_PKjT5_ ; -- Begin function _Z26sort_keys_values_segmentedILj512ELj64ELj1ELb0EsiN10test_utils4lessEEvPT3_PT4_PKjT5_
	.globl	_Z26sort_keys_values_segmentedILj512ELj64ELj1ELb0EsiN10test_utils4lessEEvPT3_PT4_PKjT5_
	.p2align	8
	.type	_Z26sort_keys_values_segmentedILj512ELj64ELj1ELb0EsiN10test_utils4lessEEvPT3_PT4_PKjT5_,@function
_Z26sort_keys_values_segmentedILj512ELj64ELj1ELb0EsiN10test_utils4lessEEvPT3_PT4_PKjT5_: ; @_Z26sort_keys_values_segmentedILj512ELj64ELj1ELb0EsiN10test_utils4lessEEvPT3_PT4_PKjT5_
; %bb.0:
	s_load_dwordx2 s[0:1], s[4:5], 0x10
	v_lshrrev_b32_e32 v10, 6, v0
	v_lshl_or_b32 v0, s6, 3, v10
	v_mov_b32_e32 v1, 0
	v_lshlrev_b64 v[2:3], 2, v[0:1]
	s_waitcnt lgkmcnt(0)
	v_mov_b32_e32 v4, s1
	v_add_co_u32_e32 v2, vcc, s0, v2
	v_addc_co_u32_e32 v3, vcc, v4, v3, vcc
	global_load_dword v7, v[2:3], off
	s_load_dwordx4 s[0:3], s[4:5], 0x0
	v_mbcnt_lo_u32_b32 v2, -1, 0
	v_lshlrev_b32_e32 v0, 6, v0
	v_mbcnt_hi_u32_b32 v8, -1, v2
	v_lshlrev_b64 v[2:3], 1, v[0:1]
	s_waitcnt lgkmcnt(0)
	v_mov_b32_e32 v4, s1
	v_add_co_u32_e32 v2, vcc, s0, v2
	v_addc_co_u32_e32 v3, vcc, v4, v3, vcc
	v_lshlrev_b32_e32 v4, 1, v8
                                        ; implicit-def: $vgpr12
	s_waitcnt vmcnt(0)
	v_cmp_lt_u32_e32 vcc, v8, v7
	s_and_saveexec_b64 s[4:5], vcc
	s_cbranch_execz .LBB18_2
; %bb.1:
	v_add_co_u32_e64 v5, s[0:1], v2, v4
	v_addc_co_u32_e64 v6, s[0:1], 0, v3, s[0:1]
	global_load_ushort v12, v[5:6], off
.LBB18_2:
	s_or_b64 exec, exec, s[4:5]
	v_lshlrev_b64 v[0:1], 2, v[0:1]
	v_mov_b32_e32 v5, s3
	v_add_co_u32_e64 v0, s[0:1], s2, v0
	v_addc_co_u32_e64 v1, s[0:1], v5, v1, s[0:1]
	v_lshlrev_b32_e32 v5, 2, v8
                                        ; implicit-def: $vgpr11
	s_and_saveexec_b64 s[2:3], vcc
	s_cbranch_execz .LBB18_4
; %bb.3:
	v_add_co_u32_e64 v13, s[0:1], v0, v5
	v_addc_co_u32_e64 v14, s[0:1], 0, v1, s[0:1]
	global_load_dword v11, v[13:14], off
.LBB18_4:
	s_or_b64 exec, exec, s[2:3]
	s_movk_i32 s0, 0x104
	v_mad_u32_u24 v9, v10, s0, v4
	; wave barrier
	s_waitcnt vmcnt(0)
	ds_write_b16 v9, v12
	v_and_b32_e32 v12, 0x7e, v8
	v_and_b32_e32 v13, 1, v8
	v_min_i32_e32 v12, v7, v12
	v_min_i32_e32 v15, v7, v13
	v_add_u32_e32 v13, 1, v12
	v_min_i32_e32 v13, v7, v13
	v_add_u32_e32 v14, 1, v13
	v_min_i32_e32 v14, v7, v14
	v_sub_u32_e32 v18, v14, v13
	v_lshlrev_b32_e32 v16, 1, v12
	v_mul_u32_u24_e32 v6, 0x104, v10
	v_sub_u32_e32 v17, v13, v12
	v_mad_u32_u24 v16, v10, s0, v16
	v_sub_u32_e32 v10, v15, v18
	v_cmp_ge_i32_e64 s[0:1], v15, v18
	v_cndmask_b32_e64 v10, 0, v10, s[0:1]
	v_min_i32_e32 v17, v15, v17
	v_cmp_lt_i32_e64 s[0:1], v10, v17
	; wave barrier
	s_and_saveexec_b64 s[2:3], s[0:1]
	s_cbranch_execz .LBB18_8
; %bb.5:
	v_lshlrev_b32_e32 v18, 1, v13
	v_lshlrev_b32_e32 v19, 1, v15
	v_add3_u32 v18, v6, v18, v19
	s_mov_b64 s[4:5], 0
.LBB18_6:                               ; =>This Inner Loop Header: Depth=1
	v_sub_u32_e32 v19, v17, v10
	v_lshrrev_b32_e32 v19, 1, v19
	v_add_u32_e32 v19, v19, v10
	v_not_b32_e32 v21, v19
	v_lshl_add_u32 v20, v19, 1, v16
	v_lshl_add_u32 v21, v21, 1, v18
	ds_read_u16 v20, v20
	ds_read_u16 v21, v21
	v_add_u32_e32 v22, 1, v19
	s_waitcnt lgkmcnt(0)
	v_cmp_lt_i16_e64 s[0:1], v21, v20
	v_cndmask_b32_e64 v17, v17, v19, s[0:1]
	v_cndmask_b32_e64 v10, v22, v10, s[0:1]
	v_cmp_ge_i32_e64 s[0:1], v10, v17
	s_or_b64 s[4:5], s[0:1], s[4:5]
	s_andn2_b64 exec, exec, s[4:5]
	s_cbranch_execnz .LBB18_6
; %bb.7:
	s_or_b64 exec, exec, s[4:5]
.LBB18_8:
	s_or_b64 exec, exec, s[2:3]
	v_add_u32_e32 v15, v13, v15
	v_sub_u32_e32 v15, v15, v10
	v_lshl_add_u32 v16, v10, 1, v16
	v_lshl_add_u32 v17, v15, 1, v6
	ds_read_u16 v16, v16
	ds_read_u16 v17, v17
	v_add_u32_e32 v10, v10, v12
	v_cmp_le_i32_e64 s[2:3], v13, v10
	v_cmp_gt_i32_e64 s[0:1], v14, v15
	s_waitcnt lgkmcnt(0)
	v_cmp_lt_i16_e64 s[4:5], v17, v16
	s_or_b64 s[2:3], s[2:3], s[4:5]
	s_and_b64 s[0:1], s[0:1], s[2:3]
	v_cndmask_b32_e64 v13, v10, v15, s[0:1]
	v_add_u32_e32 v10, v9, v4
	v_cndmask_b32_e64 v12, v16, v17, s[0:1]
	; wave barrier
	ds_write_b32 v10, v11
	v_lshl_add_u32 v11, v13, 2, v6
	; wave barrier
	ds_read_b32 v11, v11
	; wave barrier
	ds_write_b16 v9, v12
	v_and_b32_e32 v12, 0x7c, v8
	v_and_b32_e32 v13, 3, v8
	v_min_i32_e32 v12, v7, v12
	v_min_i32_e32 v15, v7, v13
	v_add_u32_e32 v13, 2, v12
	v_min_i32_e32 v13, v7, v13
	v_add_u32_e32 v14, 2, v13
	v_min_i32_e32 v14, v7, v14
	v_sub_u32_e32 v16, v14, v13
	v_sub_u32_e32 v18, v13, v12
	;; [unrolled: 1-line block ×3, first 2 shown]
	v_cmp_ge_i32_e64 s[0:1], v15, v16
	v_cndmask_b32_e64 v16, 0, v19, s[0:1]
	v_min_i32_e32 v18, v15, v18
	v_lshl_add_u32 v17, v12, 1, v6
	v_cmp_lt_i32_e64 s[0:1], v16, v18
	; wave barrier
	s_and_saveexec_b64 s[2:3], s[0:1]
	s_cbranch_execz .LBB18_12
; %bb.9:
	v_lshlrev_b32_e32 v19, 1, v13
	v_lshlrev_b32_e32 v20, 1, v15
	v_add3_u32 v19, v6, v19, v20
	s_mov_b64 s[4:5], 0
.LBB18_10:                              ; =>This Inner Loop Header: Depth=1
	v_sub_u32_e32 v20, v18, v16
	v_lshrrev_b32_e32 v20, 1, v20
	v_add_u32_e32 v20, v20, v16
	v_not_b32_e32 v22, v20
	v_lshl_add_u32 v21, v20, 1, v17
	v_lshl_add_u32 v22, v22, 1, v19
	ds_read_u16 v21, v21
	ds_read_u16 v22, v22
	v_add_u32_e32 v23, 1, v20
	s_waitcnt lgkmcnt(0)
	v_cmp_lt_i16_e64 s[0:1], v22, v21
	v_cndmask_b32_e64 v18, v18, v20, s[0:1]
	v_cndmask_b32_e64 v16, v23, v16, s[0:1]
	v_cmp_ge_i32_e64 s[0:1], v16, v18
	s_or_b64 s[4:5], s[0:1], s[4:5]
	s_andn2_b64 exec, exec, s[4:5]
	s_cbranch_execnz .LBB18_10
; %bb.11:
	s_or_b64 exec, exec, s[4:5]
.LBB18_12:
	s_or_b64 exec, exec, s[2:3]
	v_add_u32_e32 v15, v13, v15
	v_sub_u32_e32 v15, v15, v16
	v_lshl_add_u32 v17, v16, 1, v17
	v_lshl_add_u32 v18, v15, 1, v6
	ds_read_u16 v17, v17
	ds_read_u16 v18, v18
	v_add_u32_e32 v12, v16, v12
	v_cmp_le_i32_e64 s[2:3], v13, v12
	v_cmp_gt_i32_e64 s[0:1], v14, v15
	s_waitcnt lgkmcnt(0)
	v_cmp_lt_i16_e64 s[4:5], v18, v17
	s_or_b64 s[2:3], s[2:3], s[4:5]
	s_and_b64 s[0:1], s[0:1], s[2:3]
	v_cndmask_b32_e64 v12, v12, v15, s[0:1]
	v_cndmask_b32_e64 v13, v17, v18, s[0:1]
	; wave barrier
	ds_write_b32 v10, v11
	v_lshl_add_u32 v11, v12, 2, v6
	v_and_b32_e32 v12, 0x78, v8
	; wave barrier
	ds_read_b32 v11, v11
	; wave barrier
	ds_write_b16 v9, v13
	v_and_b32_e32 v13, 7, v8
	v_min_i32_e32 v12, v7, v12
	v_min_i32_e32 v15, v7, v13
	v_add_u32_e32 v13, 4, v12
	v_min_i32_e32 v13, v7, v13
	v_add_u32_e32 v14, 4, v13
	v_min_i32_e32 v14, v7, v14
	v_sub_u32_e32 v16, v14, v13
	v_sub_u32_e32 v18, v13, v12
	;; [unrolled: 1-line block ×3, first 2 shown]
	v_cmp_ge_i32_e64 s[0:1], v15, v16
	v_cndmask_b32_e64 v16, 0, v19, s[0:1]
	v_min_i32_e32 v18, v15, v18
	v_lshl_add_u32 v17, v12, 1, v6
	v_cmp_lt_i32_e64 s[0:1], v16, v18
	; wave barrier
	s_and_saveexec_b64 s[2:3], s[0:1]
	s_cbranch_execz .LBB18_16
; %bb.13:
	v_lshlrev_b32_e32 v19, 1, v13
	v_lshlrev_b32_e32 v20, 1, v15
	v_add3_u32 v19, v6, v19, v20
	s_mov_b64 s[4:5], 0
.LBB18_14:                              ; =>This Inner Loop Header: Depth=1
	v_sub_u32_e32 v20, v18, v16
	v_lshrrev_b32_e32 v20, 1, v20
	v_add_u32_e32 v20, v20, v16
	v_not_b32_e32 v22, v20
	v_lshl_add_u32 v21, v20, 1, v17
	v_lshl_add_u32 v22, v22, 1, v19
	ds_read_u16 v21, v21
	ds_read_u16 v22, v22
	v_add_u32_e32 v23, 1, v20
	s_waitcnt lgkmcnt(0)
	v_cmp_lt_i16_e64 s[0:1], v22, v21
	v_cndmask_b32_e64 v18, v18, v20, s[0:1]
	v_cndmask_b32_e64 v16, v23, v16, s[0:1]
	v_cmp_ge_i32_e64 s[0:1], v16, v18
	s_or_b64 s[4:5], s[0:1], s[4:5]
	s_andn2_b64 exec, exec, s[4:5]
	s_cbranch_execnz .LBB18_14
; %bb.15:
	s_or_b64 exec, exec, s[4:5]
.LBB18_16:
	s_or_b64 exec, exec, s[2:3]
	v_add_u32_e32 v15, v13, v15
	v_sub_u32_e32 v15, v15, v16
	v_lshl_add_u32 v17, v16, 1, v17
	v_lshl_add_u32 v18, v15, 1, v6
	ds_read_u16 v17, v17
	ds_read_u16 v18, v18
	v_add_u32_e32 v12, v16, v12
	v_cmp_le_i32_e64 s[2:3], v13, v12
	v_cmp_gt_i32_e64 s[0:1], v14, v15
	s_waitcnt lgkmcnt(0)
	v_cmp_lt_i16_e64 s[4:5], v18, v17
	s_or_b64 s[2:3], s[2:3], s[4:5]
	s_and_b64 s[0:1], s[0:1], s[2:3]
	v_cndmask_b32_e64 v12, v12, v15, s[0:1]
	v_cndmask_b32_e64 v13, v17, v18, s[0:1]
	; wave barrier
	ds_write_b32 v10, v11
	v_lshl_add_u32 v11, v12, 2, v6
	v_and_b32_e32 v12, 0x70, v8
	; wave barrier
	ds_read_b32 v11, v11
	; wave barrier
	ds_write_b16 v9, v13
	v_and_b32_e32 v13, 15, v8
	v_min_i32_e32 v12, v7, v12
	v_min_i32_e32 v15, v7, v13
	v_add_u32_e32 v13, 8, v12
	v_min_i32_e32 v13, v7, v13
	v_add_u32_e32 v14, 8, v13
	v_min_i32_e32 v14, v7, v14
	v_sub_u32_e32 v16, v14, v13
	v_sub_u32_e32 v18, v13, v12
	;; [unrolled: 1-line block ×3, first 2 shown]
	v_cmp_ge_i32_e64 s[0:1], v15, v16
	v_cndmask_b32_e64 v16, 0, v19, s[0:1]
	v_min_i32_e32 v18, v15, v18
	v_lshl_add_u32 v17, v12, 1, v6
	v_cmp_lt_i32_e64 s[0:1], v16, v18
	; wave barrier
	s_and_saveexec_b64 s[2:3], s[0:1]
	s_cbranch_execz .LBB18_20
; %bb.17:
	v_lshlrev_b32_e32 v19, 1, v13
	v_lshlrev_b32_e32 v20, 1, v15
	v_add3_u32 v19, v6, v19, v20
	s_mov_b64 s[4:5], 0
.LBB18_18:                              ; =>This Inner Loop Header: Depth=1
	v_sub_u32_e32 v20, v18, v16
	v_lshrrev_b32_e32 v20, 1, v20
	v_add_u32_e32 v20, v20, v16
	v_not_b32_e32 v22, v20
	v_lshl_add_u32 v21, v20, 1, v17
	v_lshl_add_u32 v22, v22, 1, v19
	ds_read_u16 v21, v21
	ds_read_u16 v22, v22
	v_add_u32_e32 v23, 1, v20
	s_waitcnt lgkmcnt(0)
	v_cmp_lt_i16_e64 s[0:1], v22, v21
	v_cndmask_b32_e64 v18, v18, v20, s[0:1]
	v_cndmask_b32_e64 v16, v23, v16, s[0:1]
	v_cmp_ge_i32_e64 s[0:1], v16, v18
	s_or_b64 s[4:5], s[0:1], s[4:5]
	s_andn2_b64 exec, exec, s[4:5]
	s_cbranch_execnz .LBB18_18
; %bb.19:
	s_or_b64 exec, exec, s[4:5]
.LBB18_20:
	s_or_b64 exec, exec, s[2:3]
	v_add_u32_e32 v15, v13, v15
	v_sub_u32_e32 v15, v15, v16
	v_lshl_add_u32 v17, v16, 1, v17
	v_lshl_add_u32 v18, v15, 1, v6
	ds_read_u16 v17, v17
	ds_read_u16 v18, v18
	v_add_u32_e32 v12, v16, v12
	v_cmp_le_i32_e64 s[2:3], v13, v12
	v_cmp_gt_i32_e64 s[0:1], v14, v15
	s_waitcnt lgkmcnt(0)
	v_cmp_lt_i16_e64 s[4:5], v18, v17
	s_or_b64 s[2:3], s[2:3], s[4:5]
	s_and_b64 s[0:1], s[0:1], s[2:3]
	v_cndmask_b32_e64 v12, v12, v15, s[0:1]
	v_cndmask_b32_e64 v13, v17, v18, s[0:1]
	; wave barrier
	ds_write_b32 v10, v11
	v_lshl_add_u32 v11, v12, 2, v6
	v_and_b32_e32 v12, 0x60, v8
	; wave barrier
	ds_read_b32 v11, v11
	; wave barrier
	ds_write_b16 v9, v13
	v_and_b32_e32 v13, 31, v8
	v_min_i32_e32 v12, v7, v12
	v_min_i32_e32 v15, v7, v13
	v_add_u32_e32 v13, 16, v12
	v_min_i32_e32 v13, v7, v13
	v_add_u32_e32 v14, 16, v13
	v_min_i32_e32 v14, v7, v14
	v_sub_u32_e32 v16, v14, v13
	v_sub_u32_e32 v18, v13, v12
	;; [unrolled: 1-line block ×3, first 2 shown]
	v_cmp_ge_i32_e64 s[0:1], v15, v16
	v_cndmask_b32_e64 v16, 0, v19, s[0:1]
	v_min_i32_e32 v18, v15, v18
	v_lshl_add_u32 v17, v12, 1, v6
	v_cmp_lt_i32_e64 s[0:1], v16, v18
	; wave barrier
	s_and_saveexec_b64 s[2:3], s[0:1]
	s_cbranch_execz .LBB18_24
; %bb.21:
	v_lshlrev_b32_e32 v19, 1, v13
	v_lshlrev_b32_e32 v20, 1, v15
	v_add3_u32 v19, v6, v19, v20
	s_mov_b64 s[4:5], 0
.LBB18_22:                              ; =>This Inner Loop Header: Depth=1
	v_sub_u32_e32 v20, v18, v16
	v_lshrrev_b32_e32 v20, 1, v20
	v_add_u32_e32 v20, v20, v16
	v_not_b32_e32 v22, v20
	v_lshl_add_u32 v21, v20, 1, v17
	v_lshl_add_u32 v22, v22, 1, v19
	ds_read_u16 v21, v21
	ds_read_u16 v22, v22
	v_add_u32_e32 v23, 1, v20
	s_waitcnt lgkmcnt(0)
	v_cmp_lt_i16_e64 s[0:1], v22, v21
	v_cndmask_b32_e64 v18, v18, v20, s[0:1]
	v_cndmask_b32_e64 v16, v23, v16, s[0:1]
	v_cmp_ge_i32_e64 s[0:1], v16, v18
	s_or_b64 s[4:5], s[0:1], s[4:5]
	s_andn2_b64 exec, exec, s[4:5]
	s_cbranch_execnz .LBB18_22
; %bb.23:
	s_or_b64 exec, exec, s[4:5]
.LBB18_24:
	s_or_b64 exec, exec, s[2:3]
	v_add_u32_e32 v15, v13, v15
	v_sub_u32_e32 v15, v15, v16
	v_lshl_add_u32 v17, v16, 1, v17
	v_lshl_add_u32 v18, v15, 1, v6
	ds_read_u16 v17, v17
	ds_read_u16 v18, v18
	v_add_u32_e32 v12, v16, v12
	v_cmp_le_i32_e64 s[2:3], v13, v12
	v_cmp_gt_i32_e64 s[0:1], v14, v15
	s_waitcnt lgkmcnt(0)
	v_cmp_lt_i16_e64 s[4:5], v18, v17
	s_or_b64 s[2:3], s[2:3], s[4:5]
	s_and_b64 s[0:1], s[0:1], s[2:3]
	v_cndmask_b32_e64 v12, v12, v15, s[0:1]
	v_cndmask_b32_e64 v13, v17, v18, s[0:1]
	; wave barrier
	ds_write_b32 v10, v11
	v_lshl_add_u32 v11, v12, 2, v6
	; wave barrier
	ds_read_b32 v11, v11
	; wave barrier
	ds_write_b16 v9, v13
	v_and_b32_e32 v9, 64, v8
	v_and_b32_e32 v8, 63, v8
	v_min_i32_e32 v9, v7, v9
	v_min_i32_e32 v13, v7, v8
	v_add_u32_e32 v8, 32, v9
	v_min_i32_e32 v8, v7, v8
	v_add_u32_e32 v12, 32, v8
	v_min_i32_e32 v7, v7, v12
	v_sub_u32_e32 v12, v7, v8
	v_sub_u32_e32 v15, v8, v9
	;; [unrolled: 1-line block ×3, first 2 shown]
	v_cmp_ge_i32_e64 s[0:1], v13, v12
	v_cndmask_b32_e64 v12, 0, v16, s[0:1]
	v_min_i32_e32 v15, v13, v15
	v_lshl_add_u32 v14, v9, 1, v6
	v_cmp_lt_i32_e64 s[0:1], v12, v15
	; wave barrier
	s_and_saveexec_b64 s[2:3], s[0:1]
	s_cbranch_execz .LBB18_28
; %bb.25:
	v_lshlrev_b32_e32 v16, 1, v8
	v_lshlrev_b32_e32 v17, 1, v13
	v_add3_u32 v16, v6, v16, v17
	s_mov_b64 s[4:5], 0
.LBB18_26:                              ; =>This Inner Loop Header: Depth=1
	v_sub_u32_e32 v17, v15, v12
	v_lshrrev_b32_e32 v17, 1, v17
	v_add_u32_e32 v17, v17, v12
	v_not_b32_e32 v19, v17
	v_lshl_add_u32 v18, v17, 1, v14
	v_lshl_add_u32 v19, v19, 1, v16
	ds_read_u16 v18, v18
	ds_read_u16 v19, v19
	v_add_u32_e32 v20, 1, v17
	s_waitcnt lgkmcnt(0)
	v_cmp_lt_i16_e64 s[0:1], v19, v18
	v_cndmask_b32_e64 v15, v15, v17, s[0:1]
	v_cndmask_b32_e64 v12, v20, v12, s[0:1]
	v_cmp_ge_i32_e64 s[0:1], v12, v15
	s_or_b64 s[4:5], s[0:1], s[4:5]
	s_andn2_b64 exec, exec, s[4:5]
	s_cbranch_execnz .LBB18_26
; %bb.27:
	s_or_b64 exec, exec, s[4:5]
.LBB18_28:
	s_or_b64 exec, exec, s[2:3]
	v_add_u32_e32 v13, v8, v13
	v_sub_u32_e32 v13, v13, v12
	v_lshl_add_u32 v14, v12, 1, v14
	v_lshl_add_u32 v15, v13, 1, v6
	ds_read_u16 v14, v14
	ds_read_u16 v15, v15
	; wave barrier
	s_waitcnt lgkmcnt(3)
	ds_write_b32 v10, v11
	; wave barrier
	s_and_saveexec_b64 s[0:1], vcc
	s_cbranch_execz .LBB18_30
; %bb.29:
	v_add_u32_e32 v9, v12, v9
	v_add_co_u32_e32 v2, vcc, v2, v4
	v_addc_co_u32_e32 v3, vcc, 0, v3, vcc
	v_cmp_le_i32_e64 s[0:1], v8, v9
	s_waitcnt lgkmcnt(1)
	v_cmp_lt_i16_e64 s[2:3], v15, v14
	v_cmp_gt_i32_e32 vcc, v7, v13
	s_or_b64 s[0:1], s[0:1], s[2:3]
	s_and_b64 vcc, vcc, s[0:1]
	v_cndmask_b32_e32 v4, v9, v13, vcc
	v_lshl_add_u32 v4, v4, 2, v6
	ds_read_b32 v4, v4
	v_cndmask_b32_e32 v6, v14, v15, vcc
	v_add_co_u32_e32 v0, vcc, v0, v5
	v_addc_co_u32_e32 v1, vcc, 0, v1, vcc
	global_store_short v[2:3], v6, off
	s_waitcnt lgkmcnt(0)
	global_store_dword v[0:1], v4, off
.LBB18_30:
	s_endpgm
	.section	.rodata,"a",@progbits
	.p2align	6, 0x0
	.amdhsa_kernel _Z26sort_keys_values_segmentedILj512ELj64ELj1ELb0EsiN10test_utils4lessEEvPT3_PT4_PKjT5_
		.amdhsa_group_segment_fixed_size 2080
		.amdhsa_private_segment_fixed_size 0
		.amdhsa_kernarg_size 28
		.amdhsa_user_sgpr_count 6
		.amdhsa_user_sgpr_private_segment_buffer 1
		.amdhsa_user_sgpr_dispatch_ptr 0
		.amdhsa_user_sgpr_queue_ptr 0
		.amdhsa_user_sgpr_kernarg_segment_ptr 1
		.amdhsa_user_sgpr_dispatch_id 0
		.amdhsa_user_sgpr_flat_scratch_init 0
		.amdhsa_user_sgpr_private_segment_size 0
		.amdhsa_uses_dynamic_stack 0
		.amdhsa_system_sgpr_private_segment_wavefront_offset 0
		.amdhsa_system_sgpr_workgroup_id_x 1
		.amdhsa_system_sgpr_workgroup_id_y 0
		.amdhsa_system_sgpr_workgroup_id_z 0
		.amdhsa_system_sgpr_workgroup_info 0
		.amdhsa_system_vgpr_workitem_id 0
		.amdhsa_next_free_vgpr 24
		.amdhsa_next_free_sgpr 7
		.amdhsa_reserve_vcc 1
		.amdhsa_reserve_flat_scratch 0
		.amdhsa_float_round_mode_32 0
		.amdhsa_float_round_mode_16_64 0
		.amdhsa_float_denorm_mode_32 3
		.amdhsa_float_denorm_mode_16_64 3
		.amdhsa_dx10_clamp 1
		.amdhsa_ieee_mode 1
		.amdhsa_fp16_overflow 0
		.amdhsa_exception_fp_ieee_invalid_op 0
		.amdhsa_exception_fp_denorm_src 0
		.amdhsa_exception_fp_ieee_div_zero 0
		.amdhsa_exception_fp_ieee_overflow 0
		.amdhsa_exception_fp_ieee_underflow 0
		.amdhsa_exception_fp_ieee_inexact 0
		.amdhsa_exception_int_div_zero 0
	.end_amdhsa_kernel
	.section	.text._Z26sort_keys_values_segmentedILj512ELj64ELj1ELb0EsiN10test_utils4lessEEvPT3_PT4_PKjT5_,"axG",@progbits,_Z26sort_keys_values_segmentedILj512ELj64ELj1ELb0EsiN10test_utils4lessEEvPT3_PT4_PKjT5_,comdat
.Lfunc_end18:
	.size	_Z26sort_keys_values_segmentedILj512ELj64ELj1ELb0EsiN10test_utils4lessEEvPT3_PT4_PKjT5_, .Lfunc_end18-_Z26sort_keys_values_segmentedILj512ELj64ELj1ELb0EsiN10test_utils4lessEEvPT3_PT4_PKjT5_
                                        ; -- End function
	.set _Z26sort_keys_values_segmentedILj512ELj64ELj1ELb0EsiN10test_utils4lessEEvPT3_PT4_PKjT5_.num_vgpr, 24
	.set _Z26sort_keys_values_segmentedILj512ELj64ELj1ELb0EsiN10test_utils4lessEEvPT3_PT4_PKjT5_.num_agpr, 0
	.set _Z26sort_keys_values_segmentedILj512ELj64ELj1ELb0EsiN10test_utils4lessEEvPT3_PT4_PKjT5_.numbered_sgpr, 7
	.set _Z26sort_keys_values_segmentedILj512ELj64ELj1ELb0EsiN10test_utils4lessEEvPT3_PT4_PKjT5_.num_named_barrier, 0
	.set _Z26sort_keys_values_segmentedILj512ELj64ELj1ELb0EsiN10test_utils4lessEEvPT3_PT4_PKjT5_.private_seg_size, 0
	.set _Z26sort_keys_values_segmentedILj512ELj64ELj1ELb0EsiN10test_utils4lessEEvPT3_PT4_PKjT5_.uses_vcc, 1
	.set _Z26sort_keys_values_segmentedILj512ELj64ELj1ELb0EsiN10test_utils4lessEEvPT3_PT4_PKjT5_.uses_flat_scratch, 0
	.set _Z26sort_keys_values_segmentedILj512ELj64ELj1ELb0EsiN10test_utils4lessEEvPT3_PT4_PKjT5_.has_dyn_sized_stack, 0
	.set _Z26sort_keys_values_segmentedILj512ELj64ELj1ELb0EsiN10test_utils4lessEEvPT3_PT4_PKjT5_.has_recursion, 0
	.set _Z26sort_keys_values_segmentedILj512ELj64ELj1ELb0EsiN10test_utils4lessEEvPT3_PT4_PKjT5_.has_indirect_call, 0
	.section	.AMDGPU.csdata,"",@progbits
; Kernel info:
; codeLenInByte = 2380
; TotalNumSgprs: 11
; NumVgprs: 24
; ScratchSize: 0
; MemoryBound: 0
; FloatMode: 240
; IeeeMode: 1
; LDSByteSize: 2080 bytes/workgroup (compile time only)
; SGPRBlocks: 1
; VGPRBlocks: 5
; NumSGPRsForWavesPerEU: 11
; NumVGPRsForWavesPerEU: 24
; Occupancy: 10
; WaveLimiterHint : 0
; COMPUTE_PGM_RSRC2:SCRATCH_EN: 0
; COMPUTE_PGM_RSRC2:USER_SGPR: 6
; COMPUTE_PGM_RSRC2:TRAP_HANDLER: 0
; COMPUTE_PGM_RSRC2:TGID_X_EN: 1
; COMPUTE_PGM_RSRC2:TGID_Y_EN: 0
; COMPUTE_PGM_RSRC2:TGID_Z_EN: 0
; COMPUTE_PGM_RSRC2:TIDIG_COMP_CNT: 0
	.section	.text._Z26sort_keys_values_segmentedILj32ELj32ELj1ELb0EdiN10test_utils4lessEEvPT3_PT4_PKjT5_,"axG",@progbits,_Z26sort_keys_values_segmentedILj32ELj32ELj1ELb0EdiN10test_utils4lessEEvPT3_PT4_PKjT5_,comdat
	.protected	_Z26sort_keys_values_segmentedILj32ELj32ELj1ELb0EdiN10test_utils4lessEEvPT3_PT4_PKjT5_ ; -- Begin function _Z26sort_keys_values_segmentedILj32ELj32ELj1ELb0EdiN10test_utils4lessEEvPT3_PT4_PKjT5_
	.globl	_Z26sort_keys_values_segmentedILj32ELj32ELj1ELb0EdiN10test_utils4lessEEvPT3_PT4_PKjT5_
	.p2align	8
	.type	_Z26sort_keys_values_segmentedILj32ELj32ELj1ELb0EdiN10test_utils4lessEEvPT3_PT4_PKjT5_,@function
_Z26sort_keys_values_segmentedILj32ELj32ELj1ELb0EdiN10test_utils4lessEEvPT3_PT4_PKjT5_: ; @_Z26sort_keys_values_segmentedILj32ELj32ELj1ELb0EdiN10test_utils4lessEEvPT3_PT4_PKjT5_
; %bb.0:
	s_load_dwordx2 s[0:1], s[4:5], 0x10
	s_mov_b32 s7, 0
	s_lshl_b64 s[2:3], s[6:7], 2
	v_mov_b32_e32 v0, 0
                                        ; implicit-def: $vgpr2_vgpr3
	s_waitcnt lgkmcnt(0)
	s_add_u32 s0, s0, s2
	s_addc_u32 s1, s1, s3
	global_load_dword v4, v0, s[0:1]
	s_load_dwordx4 s[0:3], s[4:5], 0x0
	s_lshl_b32 s6, s6, 5
	v_mbcnt_lo_u32_b32 v0, -1, 0
	s_lshl_b64 s[4:5], s[6:7], 3
	v_mbcnt_hi_u32_b32 v10, -1, v0
	s_waitcnt lgkmcnt(0)
	s_add_u32 s0, s0, s4
	v_and_b32_e32 v5, 31, v10
	s_addc_u32 s1, s1, s5
	v_mov_b32_e32 v0, s0
	v_mov_b32_e32 v1, s1
	v_lshlrev_b32_e32 v6, 3, v5
	s_waitcnt vmcnt(0)
	v_cmp_lt_u32_e32 vcc, v5, v4
	s_and_saveexec_b64 s[4:5], vcc
	s_cbranch_execz .LBB19_2
; %bb.1:
	v_add_co_u32_e64 v2, s[0:1], v0, v6
	v_addc_co_u32_e64 v3, s[0:1], 0, v1, s[0:1]
	global_load_dwordx2 v[2:3], v[2:3], off
.LBB19_2:
	s_or_b64 exec, exec, s[4:5]
	v_lshlrev_b64 v[7:8], 2, s[6:7]
	v_mov_b32_e32 v9, s3
	v_add_co_u32_e64 v7, s[0:1], s2, v7
	v_addc_co_u32_e64 v8, s[0:1], v9, v8, s[0:1]
	v_lshlrev_b32_e32 v9, 2, v5
                                        ; implicit-def: $vgpr11
	s_and_saveexec_b64 s[2:3], vcc
	s_cbranch_execz .LBB19_4
; %bb.3:
	v_add_co_u32_e64 v11, s[0:1], v7, v9
	v_addc_co_u32_e64 v12, s[0:1], 0, v8, s[0:1]
	global_load_dword v11, v[11:12], off
.LBB19_4:
	s_or_b64 exec, exec, s[2:3]
	; wave barrier
	s_waitcnt vmcnt(0)
	ds_write_b64 v6, v[2:3]
	v_and_b32_e32 v2, 30, v10
	v_min_i32_e32 v12, v4, v2
	v_add_u32_e32 v2, 1, v12
	v_and_b32_e32 v3, 1, v10
	v_min_i32_e32 v2, v4, v2
	v_min_i32_e32 v13, v4, v3
	v_add_u32_e32 v3, 1, v2
	v_min_i32_e32 v3, v4, v3
	v_sub_u32_e32 v14, v3, v2
	v_sub_u32_e32 v16, v2, v12
	;; [unrolled: 1-line block ×3, first 2 shown]
	v_cmp_ge_i32_e64 s[0:1], v13, v14
	v_cndmask_b32_e64 v14, 0, v17, s[0:1]
	v_min_i32_e32 v16, v13, v16
	v_lshlrev_b32_e32 v15, 3, v12
	v_cmp_lt_i32_e64 s[0:1], v14, v16
	; wave barrier
	s_and_saveexec_b64 s[2:3], s[0:1]
	s_cbranch_execz .LBB19_8
; %bb.5:
	v_lshlrev_b32_e32 v17, 3, v13
	v_lshl_add_u32 v17, v2, 3, v17
	s_mov_b64 s[4:5], 0
.LBB19_6:                               ; =>This Inner Loop Header: Depth=1
	v_sub_u32_e32 v18, v16, v14
	v_lshrrev_b32_e32 v18, 1, v18
	v_add_u32_e32 v22, v18, v14
	v_not_b32_e32 v19, v22
	v_lshl_add_u32 v18, v22, 3, v15
	v_lshl_add_u32 v20, v19, 3, v17
	ds_read_b64 v[18:19], v18
	ds_read_b64 v[20:21], v20
	s_waitcnt lgkmcnt(0)
	v_cmp_lt_f64_e64 s[0:1], v[20:21], v[18:19]
	v_add_u32_e32 v18, 1, v22
	v_cndmask_b32_e64 v16, v16, v22, s[0:1]
	v_cndmask_b32_e64 v14, v18, v14, s[0:1]
	v_cmp_ge_i32_e64 s[0:1], v14, v16
	s_or_b64 s[4:5], s[0:1], s[4:5]
	s_andn2_b64 exec, exec, s[4:5]
	s_cbranch_execnz .LBB19_6
; %bb.7:
	s_or_b64 exec, exec, s[4:5]
.LBB19_8:
	s_or_b64 exec, exec, s[2:3]
	v_add_u32_e32 v13, v2, v13
	v_sub_u32_e32 v13, v13, v14
	v_lshl_add_u32 v15, v14, 3, v15
	v_lshlrev_b32_e32 v17, 3, v13
	ds_read_b64 v[15:16], v15
	ds_read_b64 v[17:18], v17
	v_add_u32_e32 v14, v14, v12
	v_cmp_le_i32_e64 s[2:3], v2, v14
	v_cmp_gt_i32_e64 s[4:5], v3, v13
	v_sub_u32_e32 v12, v6, v9
	s_waitcnt lgkmcnt(0)
	v_cmp_lt_f64_e64 s[0:1], v[17:18], v[15:16]
	; wave barrier
	ds_write_b32 v12, v11
	; wave barrier
	v_and_b32_e32 v3, 28, v10
	s_or_b64 s[0:1], s[2:3], s[0:1]
	s_and_b64 s[0:1], s[4:5], s[0:1]
	v_cndmask_b32_e64 v2, v14, v13, s[0:1]
	v_cndmask_b32_e64 v12, v16, v18, s[0:1]
	;; [unrolled: 1-line block ×3, first 2 shown]
	v_lshlrev_b32_e32 v2, 2, v2
	ds_read_b32 v2, v2
	; wave barrier
	ds_write_b64 v6, v[11:12]
	v_and_b32_e32 v11, 3, v10
	v_min_i32_e32 v13, v4, v11
	v_min_i32_e32 v11, v4, v3
	v_add_u32_e32 v3, 2, v11
	v_min_i32_e32 v3, v4, v3
	v_add_u32_e32 v12, 2, v3
	v_min_i32_e32 v12, v4, v12
	v_sub_u32_e32 v14, v12, v3
	v_sub_u32_e32 v16, v3, v11
	;; [unrolled: 1-line block ×3, first 2 shown]
	v_cmp_ge_i32_e64 s[0:1], v13, v14
	v_cndmask_b32_e64 v14, 0, v17, s[0:1]
	v_min_i32_e32 v16, v13, v16
	v_lshlrev_b32_e32 v15, 3, v11
	v_cmp_lt_i32_e64 s[0:1], v14, v16
	; wave barrier
	s_and_saveexec_b64 s[2:3], s[0:1]
	s_cbranch_execz .LBB19_12
; %bb.9:
	v_lshlrev_b32_e32 v17, 3, v13
	v_lshl_add_u32 v17, v3, 3, v17
	s_mov_b64 s[4:5], 0
.LBB19_10:                              ; =>This Inner Loop Header: Depth=1
	v_sub_u32_e32 v18, v16, v14
	v_lshrrev_b32_e32 v18, 1, v18
	v_add_u32_e32 v22, v18, v14
	v_not_b32_e32 v19, v22
	v_lshl_add_u32 v18, v22, 3, v15
	v_lshl_add_u32 v20, v19, 3, v17
	ds_read_b64 v[18:19], v18
	ds_read_b64 v[20:21], v20
	s_waitcnt lgkmcnt(0)
	v_cmp_lt_f64_e64 s[0:1], v[20:21], v[18:19]
	v_add_u32_e32 v18, 1, v22
	v_cndmask_b32_e64 v16, v16, v22, s[0:1]
	v_cndmask_b32_e64 v14, v18, v14, s[0:1]
	v_cmp_ge_i32_e64 s[0:1], v14, v16
	s_or_b64 s[4:5], s[0:1], s[4:5]
	s_andn2_b64 exec, exec, s[4:5]
	s_cbranch_execnz .LBB19_10
; %bb.11:
	s_or_b64 exec, exec, s[4:5]
.LBB19_12:
	s_or_b64 exec, exec, s[2:3]
	v_add_u32_e32 v13, v3, v13
	v_sub_u32_e32 v21, v13, v14
	v_lshl_add_u32 v13, v14, 3, v15
	v_lshlrev_b32_e32 v15, 3, v21
	ds_read_b64 v[17:18], v13
	ds_read_b64 v[19:20], v15
	v_add_u32_e32 v14, v14, v11
	v_cmp_le_i32_e64 s[2:3], v3, v14
	v_sub_u32_e32 v16, 0, v9
	v_cmp_gt_i32_e64 s[4:5], v12, v21
	s_waitcnt lgkmcnt(0)
	v_cmp_lt_f64_e64 s[0:1], v[19:20], v[17:18]
	v_add_u32_e32 v11, v6, v16
	; wave barrier
	ds_write_b32 v11, v2
	v_and_b32_e32 v3, 24, v10
	; wave barrier
	s_or_b64 s[0:1], s[2:3], s[0:1]
	s_and_b64 s[0:1], s[4:5], s[0:1]
	v_cndmask_b32_e64 v2, v14, v21, s[0:1]
	v_cndmask_b32_e64 v13, v18, v20, s[0:1]
	;; [unrolled: 1-line block ×3, first 2 shown]
	v_lshlrev_b32_e32 v2, 2, v2
	ds_read_b32 v2, v2
	; wave barrier
	ds_write_b64 v6, v[12:13]
	v_and_b32_e32 v12, 7, v10
	v_min_i32_e32 v3, v4, v3
	v_min_i32_e32 v14, v4, v12
	v_add_u32_e32 v12, 4, v3
	v_min_i32_e32 v12, v4, v12
	v_add_u32_e32 v13, 4, v12
	v_min_i32_e32 v13, v4, v13
	v_sub_u32_e32 v15, v13, v12
	v_sub_u32_e32 v17, v12, v3
	;; [unrolled: 1-line block ×3, first 2 shown]
	v_cmp_ge_i32_e64 s[0:1], v14, v15
	v_cndmask_b32_e64 v15, 0, v18, s[0:1]
	v_min_i32_e32 v17, v14, v17
	v_lshlrev_b32_e32 v16, 3, v3
	v_cmp_lt_i32_e64 s[0:1], v15, v17
	; wave barrier
	s_and_saveexec_b64 s[2:3], s[0:1]
	s_cbranch_execz .LBB19_16
; %bb.13:
	v_lshlrev_b32_e32 v18, 3, v14
	v_lshl_add_u32 v18, v12, 3, v18
	s_mov_b64 s[4:5], 0
.LBB19_14:                              ; =>This Inner Loop Header: Depth=1
	v_sub_u32_e32 v19, v17, v15
	v_lshrrev_b32_e32 v19, 1, v19
	v_add_u32_e32 v23, v19, v15
	v_not_b32_e32 v20, v23
	v_lshl_add_u32 v19, v23, 3, v16
	v_lshl_add_u32 v21, v20, 3, v18
	ds_read_b64 v[19:20], v19
	ds_read_b64 v[21:22], v21
	s_waitcnt lgkmcnt(0)
	v_cmp_lt_f64_e64 s[0:1], v[21:22], v[19:20]
	v_add_u32_e32 v19, 1, v23
	v_cndmask_b32_e64 v17, v17, v23, s[0:1]
	v_cndmask_b32_e64 v15, v19, v15, s[0:1]
	v_cmp_ge_i32_e64 s[0:1], v15, v17
	s_or_b64 s[4:5], s[0:1], s[4:5]
	s_andn2_b64 exec, exec, s[4:5]
	s_cbranch_execnz .LBB19_14
; %bb.15:
	s_or_b64 exec, exec, s[4:5]
.LBB19_16:
	s_or_b64 exec, exec, s[2:3]
	v_add_u32_e32 v14, v12, v14
	v_sub_u32_e32 v14, v14, v15
	v_lshl_add_u32 v16, v15, 3, v16
	v_lshlrev_b32_e32 v18, 3, v14
	ds_read_b64 v[16:17], v16
	ds_read_b64 v[18:19], v18
	v_add_u32_e32 v3, v15, v3
	v_cmp_le_i32_e64 s[2:3], v12, v3
	v_cmp_gt_i32_e64 s[4:5], v13, v14
	s_waitcnt lgkmcnt(0)
	v_cmp_lt_f64_e64 s[0:1], v[18:19], v[16:17]
	; wave barrier
	ds_write_b32 v11, v2
	; wave barrier
	s_or_b64 s[0:1], s[2:3], s[0:1]
	s_and_b64 s[0:1], s[4:5], s[0:1]
	v_cndmask_b32_e64 v2, v3, v14, s[0:1]
	v_and_b32_e32 v3, 16, v10
	v_cndmask_b32_e64 v13, v17, v19, s[0:1]
	v_cndmask_b32_e64 v12, v16, v18, s[0:1]
	v_lshlrev_b32_e32 v2, 2, v2
	v_and_b32_e32 v10, 15, v10
	v_min_i32_e32 v3, v4, v3
	ds_read_b32 v2, v2
	; wave barrier
	ds_write_b64 v6, v[12:13]
	v_min_i32_e32 v13, v4, v10
	v_add_u32_e32 v10, 8, v3
	v_min_i32_e32 v10, v4, v10
	v_add_u32_e32 v12, 8, v10
	v_min_i32_e32 v12, v4, v12
	v_sub_u32_e32 v14, v12, v10
	v_sub_u32_e32 v16, v10, v3
	;; [unrolled: 1-line block ×3, first 2 shown]
	v_cmp_ge_i32_e64 s[0:1], v13, v14
	v_cndmask_b32_e64 v14, 0, v17, s[0:1]
	v_min_i32_e32 v16, v13, v16
	v_lshlrev_b32_e32 v15, 3, v3
	v_cmp_lt_i32_e64 s[0:1], v14, v16
	; wave barrier
	s_and_saveexec_b64 s[2:3], s[0:1]
	s_cbranch_execz .LBB19_20
; %bb.17:
	v_lshlrev_b32_e32 v17, 3, v13
	v_lshl_add_u32 v17, v10, 3, v17
	s_mov_b64 s[4:5], 0
.LBB19_18:                              ; =>This Inner Loop Header: Depth=1
	v_sub_u32_e32 v18, v16, v14
	v_lshrrev_b32_e32 v18, 1, v18
	v_add_u32_e32 v22, v18, v14
	v_not_b32_e32 v19, v22
	v_lshl_add_u32 v18, v22, 3, v15
	v_lshl_add_u32 v20, v19, 3, v17
	ds_read_b64 v[18:19], v18
	ds_read_b64 v[20:21], v20
	s_waitcnt lgkmcnt(0)
	v_cmp_lt_f64_e64 s[0:1], v[20:21], v[18:19]
	v_add_u32_e32 v18, 1, v22
	v_cndmask_b32_e64 v16, v16, v22, s[0:1]
	v_cndmask_b32_e64 v14, v18, v14, s[0:1]
	v_cmp_ge_i32_e64 s[0:1], v14, v16
	s_or_b64 s[4:5], s[0:1], s[4:5]
	s_andn2_b64 exec, exec, s[4:5]
	s_cbranch_execnz .LBB19_18
; %bb.19:
	s_or_b64 exec, exec, s[4:5]
.LBB19_20:
	s_or_b64 exec, exec, s[2:3]
	v_add_u32_e32 v13, v10, v13
	v_sub_u32_e32 v13, v13, v14
	v_lshl_add_u32 v15, v14, 3, v15
	v_lshlrev_b32_e32 v17, 3, v13
	ds_read_b64 v[15:16], v15
	ds_read_b64 v[17:18], v17
	v_add_u32_e32 v14, v14, v3
	v_cmp_le_i32_e64 s[2:3], v10, v14
	v_cmp_gt_i32_e64 s[4:5], v12, v13
	s_waitcnt lgkmcnt(0)
	v_cmp_lt_f64_e64 s[0:1], v[17:18], v[15:16]
	; wave barrier
	ds_write_b32 v11, v2
	v_min_i32_e32 v12, 0, v4
	; wave barrier
	s_or_b64 s[0:1], s[2:3], s[0:1]
	s_and_b64 s[0:1], s[4:5], s[0:1]
	v_cndmask_b32_e64 v10, v14, v13, s[0:1]
	v_cndmask_b32_e64 v3, v16, v18, s[0:1]
	;; [unrolled: 1-line block ×3, first 2 shown]
	v_lshlrev_b32_e32 v10, 2, v10
	ds_read_b32 v14, v10
	; wave barrier
	ds_write_b64 v6, v[2:3]
	v_add_u32_e32 v3, 16, v12
	v_min_i32_e32 v10, v4, v3
	v_add_u32_e32 v3, 16, v10
	v_min_i32_e32 v13, v4, v3
	v_min_i32_e32 v2, v4, v5
	v_sub_u32_e32 v5, v13, v10
	v_sub_u32_e32 v4, v10, v12
	;; [unrolled: 1-line block ×3, first 2 shown]
	v_cmp_ge_i32_e64 s[0:1], v2, v5
	v_cndmask_b32_e64 v15, 0, v15, s[0:1]
	v_min_i32_e32 v4, v2, v4
	v_lshlrev_b32_e32 v3, 3, v12
	v_cmp_lt_i32_e64 s[0:1], v15, v4
	; wave barrier
	s_and_saveexec_b64 s[2:3], s[0:1]
	s_cbranch_execz .LBB19_24
; %bb.21:
	v_lshlrev_b32_e32 v5, 3, v2
	v_lshl_add_u32 v5, v10, 3, v5
	s_mov_b64 s[4:5], 0
.LBB19_22:                              ; =>This Inner Loop Header: Depth=1
	v_sub_u32_e32 v16, v4, v15
	v_lshrrev_b32_e32 v16, 1, v16
	v_add_u32_e32 v20, v16, v15
	v_not_b32_e32 v17, v20
	v_lshl_add_u32 v16, v20, 3, v3
	v_lshl_add_u32 v18, v17, 3, v5
	ds_read_b64 v[16:17], v16
	ds_read_b64 v[18:19], v18
	s_waitcnt lgkmcnt(0)
	v_cmp_lt_f64_e64 s[0:1], v[18:19], v[16:17]
	v_add_u32_e32 v16, 1, v20
	v_cndmask_b32_e64 v4, v4, v20, s[0:1]
	v_cndmask_b32_e64 v15, v16, v15, s[0:1]
	v_cmp_ge_i32_e64 s[0:1], v15, v4
	s_or_b64 s[4:5], s[0:1], s[4:5]
	s_andn2_b64 exec, exec, s[4:5]
	s_cbranch_execnz .LBB19_22
; %bb.23:
	s_or_b64 exec, exec, s[4:5]
.LBB19_24:
	s_or_b64 exec, exec, s[2:3]
	v_add_u32_e32 v2, v10, v2
	v_sub_u32_e32 v16, v2, v15
	v_lshl_add_u32 v2, v15, 3, v3
	v_lshlrev_b32_e32 v4, 3, v16
	ds_read_b64 v[2:3], v2
	ds_read_b64 v[4:5], v4
	; wave barrier
	s_waitcnt lgkmcnt(3)
	ds_write_b32 v11, v14
	; wave barrier
	s_and_saveexec_b64 s[0:1], vcc
	s_cbranch_execz .LBB19_26
; %bb.25:
	s_waitcnt lgkmcnt(1)
	v_cmp_lt_f64_e32 vcc, v[4:5], v[2:3]
	v_add_u32_e32 v11, v15, v12
	v_add_co_u32_e64 v0, s[0:1], v0, v6
	v_addc_co_u32_e64 v1, s[0:1], 0, v1, s[0:1]
	v_cmp_le_i32_e64 s[2:3], v10, v11
	v_cmp_gt_i32_e64 s[0:1], v13, v16
	s_or_b64 s[2:3], s[2:3], vcc
	s_and_b64 vcc, s[0:1], s[2:3]
	v_cndmask_b32_e32 v6, v11, v16, vcc
	v_lshlrev_b32_e32 v6, 2, v6
	ds_read_b32 v6, v6
	v_cndmask_b32_e32 v3, v3, v5, vcc
	v_cndmask_b32_e32 v2, v2, v4, vcc
	global_store_dwordx2 v[0:1], v[2:3], off
	v_add_co_u32_e32 v0, vcc, v7, v9
	v_addc_co_u32_e32 v1, vcc, 0, v8, vcc
	s_waitcnt lgkmcnt(0)
	global_store_dword v[0:1], v6, off
.LBB19_26:
	s_endpgm
	.section	.rodata,"a",@progbits
	.p2align	6, 0x0
	.amdhsa_kernel _Z26sort_keys_values_segmentedILj32ELj32ELj1ELb0EdiN10test_utils4lessEEvPT3_PT4_PKjT5_
		.amdhsa_group_segment_fixed_size 264
		.amdhsa_private_segment_fixed_size 0
		.amdhsa_kernarg_size 28
		.amdhsa_user_sgpr_count 6
		.amdhsa_user_sgpr_private_segment_buffer 1
		.amdhsa_user_sgpr_dispatch_ptr 0
		.amdhsa_user_sgpr_queue_ptr 0
		.amdhsa_user_sgpr_kernarg_segment_ptr 1
		.amdhsa_user_sgpr_dispatch_id 0
		.amdhsa_user_sgpr_flat_scratch_init 0
		.amdhsa_user_sgpr_private_segment_size 0
		.amdhsa_uses_dynamic_stack 0
		.amdhsa_system_sgpr_private_segment_wavefront_offset 0
		.amdhsa_system_sgpr_workgroup_id_x 1
		.amdhsa_system_sgpr_workgroup_id_y 0
		.amdhsa_system_sgpr_workgroup_id_z 0
		.amdhsa_system_sgpr_workgroup_info 0
		.amdhsa_system_vgpr_workitem_id 0
		.amdhsa_next_free_vgpr 24
		.amdhsa_next_free_sgpr 8
		.amdhsa_reserve_vcc 1
		.amdhsa_reserve_flat_scratch 0
		.amdhsa_float_round_mode_32 0
		.amdhsa_float_round_mode_16_64 0
		.amdhsa_float_denorm_mode_32 3
		.amdhsa_float_denorm_mode_16_64 3
		.amdhsa_dx10_clamp 1
		.amdhsa_ieee_mode 1
		.amdhsa_fp16_overflow 0
		.amdhsa_exception_fp_ieee_invalid_op 0
		.amdhsa_exception_fp_denorm_src 0
		.amdhsa_exception_fp_ieee_div_zero 0
		.amdhsa_exception_fp_ieee_overflow 0
		.amdhsa_exception_fp_ieee_underflow 0
		.amdhsa_exception_fp_ieee_inexact 0
		.amdhsa_exception_int_div_zero 0
	.end_amdhsa_kernel
	.section	.text._Z26sort_keys_values_segmentedILj32ELj32ELj1ELb0EdiN10test_utils4lessEEvPT3_PT4_PKjT5_,"axG",@progbits,_Z26sort_keys_values_segmentedILj32ELj32ELj1ELb0EdiN10test_utils4lessEEvPT3_PT4_PKjT5_,comdat
.Lfunc_end19:
	.size	_Z26sort_keys_values_segmentedILj32ELj32ELj1ELb0EdiN10test_utils4lessEEvPT3_PT4_PKjT5_, .Lfunc_end19-_Z26sort_keys_values_segmentedILj32ELj32ELj1ELb0EdiN10test_utils4lessEEvPT3_PT4_PKjT5_
                                        ; -- End function
	.set _Z26sort_keys_values_segmentedILj32ELj32ELj1ELb0EdiN10test_utils4lessEEvPT3_PT4_PKjT5_.num_vgpr, 24
	.set _Z26sort_keys_values_segmentedILj32ELj32ELj1ELb0EdiN10test_utils4lessEEvPT3_PT4_PKjT5_.num_agpr, 0
	.set _Z26sort_keys_values_segmentedILj32ELj32ELj1ELb0EdiN10test_utils4lessEEvPT3_PT4_PKjT5_.numbered_sgpr, 8
	.set _Z26sort_keys_values_segmentedILj32ELj32ELj1ELb0EdiN10test_utils4lessEEvPT3_PT4_PKjT5_.num_named_barrier, 0
	.set _Z26sort_keys_values_segmentedILj32ELj32ELj1ELb0EdiN10test_utils4lessEEvPT3_PT4_PKjT5_.private_seg_size, 0
	.set _Z26sort_keys_values_segmentedILj32ELj32ELj1ELb0EdiN10test_utils4lessEEvPT3_PT4_PKjT5_.uses_vcc, 1
	.set _Z26sort_keys_values_segmentedILj32ELj32ELj1ELb0EdiN10test_utils4lessEEvPT3_PT4_PKjT5_.uses_flat_scratch, 0
	.set _Z26sort_keys_values_segmentedILj32ELj32ELj1ELb0EdiN10test_utils4lessEEvPT3_PT4_PKjT5_.has_dyn_sized_stack, 0
	.set _Z26sort_keys_values_segmentedILj32ELj32ELj1ELb0EdiN10test_utils4lessEEvPT3_PT4_PKjT5_.has_recursion, 0
	.set _Z26sort_keys_values_segmentedILj32ELj32ELj1ELb0EdiN10test_utils4lessEEvPT3_PT4_PKjT5_.has_indirect_call, 0
	.section	.AMDGPU.csdata,"",@progbits
; Kernel info:
; codeLenInByte = 1944
; TotalNumSgprs: 12
; NumVgprs: 24
; ScratchSize: 0
; MemoryBound: 0
; FloatMode: 240
; IeeeMode: 1
; LDSByteSize: 264 bytes/workgroup (compile time only)
; SGPRBlocks: 1
; VGPRBlocks: 5
; NumSGPRsForWavesPerEU: 12
; NumVGPRsForWavesPerEU: 24
; Occupancy: 10
; WaveLimiterHint : 0
; COMPUTE_PGM_RSRC2:SCRATCH_EN: 0
; COMPUTE_PGM_RSRC2:USER_SGPR: 6
; COMPUTE_PGM_RSRC2:TRAP_HANDLER: 0
; COMPUTE_PGM_RSRC2:TGID_X_EN: 1
; COMPUTE_PGM_RSRC2:TGID_Y_EN: 0
; COMPUTE_PGM_RSRC2:TGID_Z_EN: 0
; COMPUTE_PGM_RSRC2:TIDIG_COMP_CNT: 0
	.section	.text._Z26sort_keys_values_segmentedILj64ELj16ELj1ELb0EfcN10test_utils4lessEEvPT3_PT4_PKjT5_,"axG",@progbits,_Z26sort_keys_values_segmentedILj64ELj16ELj1ELb0EfcN10test_utils4lessEEvPT3_PT4_PKjT5_,comdat
	.protected	_Z26sort_keys_values_segmentedILj64ELj16ELj1ELb0EfcN10test_utils4lessEEvPT3_PT4_PKjT5_ ; -- Begin function _Z26sort_keys_values_segmentedILj64ELj16ELj1ELb0EfcN10test_utils4lessEEvPT3_PT4_PKjT5_
	.globl	_Z26sort_keys_values_segmentedILj64ELj16ELj1ELb0EfcN10test_utils4lessEEvPT3_PT4_PKjT5_
	.p2align	8
	.type	_Z26sort_keys_values_segmentedILj64ELj16ELj1ELb0EfcN10test_utils4lessEEvPT3_PT4_PKjT5_,@function
_Z26sort_keys_values_segmentedILj64ELj16ELj1ELb0EfcN10test_utils4lessEEvPT3_PT4_PKjT5_: ; @_Z26sort_keys_values_segmentedILj64ELj16ELj1ELb0EfcN10test_utils4lessEEvPT3_PT4_PKjT5_
; %bb.0:
	s_load_dwordx2 s[0:1], s[4:5], 0x10
	v_lshrrev_b32_e32 v9, 4, v0
	v_lshl_or_b32 v0, s6, 2, v9
	v_mov_b32_e32 v1, 0
	v_lshlrev_b64 v[2:3], 2, v[0:1]
	s_waitcnt lgkmcnt(0)
	v_mov_b32_e32 v4, s1
	v_add_co_u32_e32 v2, vcc, s0, v2
	v_addc_co_u32_e32 v3, vcc, v4, v3, vcc
	global_load_dword v7, v[2:3], off
	s_load_dwordx4 s[0:3], s[4:5], 0x0
	v_lshlrev_b32_e32 v0, 4, v0
	v_lshlrev_b64 v[3:4], 2, v[0:1]
	v_mbcnt_lo_u32_b32 v2, -1, 0
	v_mbcnt_hi_u32_b32 v10, -1, v2
	s_waitcnt lgkmcnt(0)
	v_mov_b32_e32 v5, s1
	v_add_co_u32_e32 v1, vcc, s0, v3
	v_and_b32_e32 v2, 15, v10
	v_addc_co_u32_e32 v3, vcc, v5, v4, vcc
	v_lshlrev_b32_e32 v4, 2, v2
                                        ; implicit-def: $vgpr12
	s_waitcnt vmcnt(0)
	v_cmp_lt_u32_e32 vcc, v2, v7
	s_and_saveexec_b64 s[4:5], vcc
	s_cbranch_execz .LBB20_2
; %bb.1:
	v_add_co_u32_e64 v5, s[0:1], v1, v4
	v_addc_co_u32_e64 v6, s[0:1], 0, v3, s[0:1]
	global_load_dword v12, v[5:6], off
.LBB20_2:
	s_or_b64 exec, exec, s[4:5]
	v_mov_b32_e32 v5, s3
	v_add_co_u32_e64 v0, s[0:1], s2, v0
	v_addc_co_u32_e64 v5, s[0:1], 0, v5, s[0:1]
                                        ; implicit-def: $vgpr11
	s_and_saveexec_b64 s[2:3], vcc
	s_cbranch_execz .LBB20_4
; %bb.3:
	v_add_co_u32_e64 v13, s[0:1], v0, v2
	v_addc_co_u32_e64 v14, s[0:1], 0, v5, s[0:1]
	global_load_ubyte v11, v[13:14], off
.LBB20_4:
	s_or_b64 exec, exec, s[2:3]
	s_movk_i32 s0, 0x44
	v_mad_u32_u24 v8, v9, s0, v4
	; wave barrier
	s_waitcnt vmcnt(0)
	ds_write_b32 v8, v12
	v_and_b32_e32 v12, 14, v10
	v_and_b32_e32 v13, 1, v10
	v_min_i32_e32 v12, v7, v12
	v_min_i32_e32 v15, v7, v13
	v_add_u32_e32 v13, 1, v12
	v_min_i32_e32 v13, v7, v13
	v_add_u32_e32 v14, 1, v13
	v_min_i32_e32 v14, v7, v14
	v_sub_u32_e32 v18, v14, v13
	v_lshlrev_b32_e32 v16, 2, v12
	v_mul_u32_u24_e32 v6, 0x44, v9
	v_sub_u32_e32 v17, v13, v12
	v_mad_u32_u24 v16, v9, s0, v16
	v_sub_u32_e32 v9, v15, v18
	v_cmp_ge_i32_e64 s[0:1], v15, v18
	v_cndmask_b32_e64 v9, 0, v9, s[0:1]
	v_min_i32_e32 v17, v15, v17
	v_cmp_lt_i32_e64 s[0:1], v9, v17
	; wave barrier
	s_and_saveexec_b64 s[2:3], s[0:1]
	s_cbranch_execz .LBB20_8
; %bb.5:
	v_lshlrev_b32_e32 v18, 2, v13
	v_lshlrev_b32_e32 v19, 2, v15
	v_add3_u32 v18, v6, v18, v19
	s_mov_b64 s[4:5], 0
.LBB20_6:                               ; =>This Inner Loop Header: Depth=1
	v_sub_u32_e32 v19, v17, v9
	v_lshrrev_b32_e32 v19, 1, v19
	v_add_u32_e32 v19, v19, v9
	v_not_b32_e32 v21, v19
	v_lshl_add_u32 v20, v19, 2, v16
	v_lshl_add_u32 v21, v21, 2, v18
	ds_read_b32 v20, v20
	ds_read_b32 v21, v21
	v_add_u32_e32 v22, 1, v19
	s_waitcnt lgkmcnt(0)
	v_cmp_lt_f32_e64 s[0:1], v21, v20
	v_cndmask_b32_e64 v17, v17, v19, s[0:1]
	v_cndmask_b32_e64 v9, v22, v9, s[0:1]
	v_cmp_ge_i32_e64 s[0:1], v9, v17
	s_or_b64 s[4:5], s[0:1], s[4:5]
	s_andn2_b64 exec, exec, s[4:5]
	s_cbranch_execnz .LBB20_6
; %bb.7:
	s_or_b64 exec, exec, s[4:5]
.LBB20_8:
	s_or_b64 exec, exec, s[2:3]
	v_add_u32_e32 v15, v13, v15
	v_sub_u32_e32 v15, v15, v9
	v_lshl_add_u32 v16, v9, 2, v16
	v_lshl_add_u32 v17, v15, 2, v6
	ds_read_b32 v16, v16
	ds_read_b32 v17, v17
	v_add_u32_e32 v9, v9, v12
	v_cmp_le_i32_e64 s[2:3], v13, v9
	v_cmp_gt_i32_e64 s[0:1], v14, v15
	s_waitcnt lgkmcnt(0)
	v_cmp_lt_f32_e64 s[4:5], v17, v16
	s_or_b64 s[2:3], s[2:3], s[4:5]
	s_and_b64 s[0:1], s[0:1], s[2:3]
	v_cndmask_b32_e64 v13, v9, v15, s[0:1]
	v_add_u32_e32 v9, v6, v2
	v_cndmask_b32_e64 v12, v16, v17, s[0:1]
	; wave barrier
	ds_write_b8 v9, v11
	v_add_u32_e32 v11, v6, v13
	; wave barrier
	ds_read_u8 v11, v11
	; wave barrier
	ds_write_b32 v8, v12
	v_and_b32_e32 v12, 12, v10
	v_and_b32_e32 v13, 3, v10
	v_min_i32_e32 v12, v7, v12
	v_min_i32_e32 v15, v7, v13
	v_add_u32_e32 v13, 2, v12
	v_min_i32_e32 v13, v7, v13
	v_add_u32_e32 v14, 2, v13
	v_min_i32_e32 v14, v7, v14
	v_sub_u32_e32 v16, v14, v13
	v_sub_u32_e32 v18, v13, v12
	;; [unrolled: 1-line block ×3, first 2 shown]
	v_cmp_ge_i32_e64 s[0:1], v15, v16
	v_cndmask_b32_e64 v16, 0, v19, s[0:1]
	v_min_i32_e32 v18, v15, v18
	v_lshl_add_u32 v17, v12, 2, v6
	v_cmp_lt_i32_e64 s[0:1], v16, v18
	; wave barrier
	s_and_saveexec_b64 s[2:3], s[0:1]
	s_cbranch_execz .LBB20_12
; %bb.9:
	v_lshlrev_b32_e32 v19, 2, v13
	v_lshlrev_b32_e32 v20, 2, v15
	v_add3_u32 v19, v6, v19, v20
	s_mov_b64 s[4:5], 0
.LBB20_10:                              ; =>This Inner Loop Header: Depth=1
	v_sub_u32_e32 v20, v18, v16
	v_lshrrev_b32_e32 v20, 1, v20
	v_add_u32_e32 v20, v20, v16
	v_not_b32_e32 v22, v20
	v_lshl_add_u32 v21, v20, 2, v17
	v_lshl_add_u32 v22, v22, 2, v19
	ds_read_b32 v21, v21
	ds_read_b32 v22, v22
	v_add_u32_e32 v23, 1, v20
	s_waitcnt lgkmcnt(0)
	v_cmp_lt_f32_e64 s[0:1], v22, v21
	v_cndmask_b32_e64 v18, v18, v20, s[0:1]
	v_cndmask_b32_e64 v16, v23, v16, s[0:1]
	v_cmp_ge_i32_e64 s[0:1], v16, v18
	s_or_b64 s[4:5], s[0:1], s[4:5]
	s_andn2_b64 exec, exec, s[4:5]
	s_cbranch_execnz .LBB20_10
; %bb.11:
	s_or_b64 exec, exec, s[4:5]
.LBB20_12:
	s_or_b64 exec, exec, s[2:3]
	v_add_u32_e32 v15, v13, v15
	v_sub_u32_e32 v15, v15, v16
	v_lshl_add_u32 v17, v16, 2, v17
	v_lshl_add_u32 v18, v15, 2, v6
	ds_read_b32 v17, v17
	ds_read_b32 v18, v18
	v_add_u32_e32 v12, v16, v12
	v_cmp_le_i32_e64 s[2:3], v13, v12
	v_cmp_gt_i32_e64 s[0:1], v14, v15
	s_waitcnt lgkmcnt(0)
	v_cmp_lt_f32_e64 s[4:5], v18, v17
	s_or_b64 s[2:3], s[2:3], s[4:5]
	s_and_b64 s[0:1], s[0:1], s[2:3]
	v_cndmask_b32_e64 v12, v12, v15, s[0:1]
	; wave barrier
	ds_write_b8 v9, v11
	v_add_u32_e32 v11, v6, v12
	v_and_b32_e32 v12, 8, v10
	v_and_b32_e32 v10, 7, v10
	v_min_i32_e32 v14, v7, v10
	v_min_i32_e32 v10, v7, v12
	v_add_u32_e32 v12, 4, v10
	v_cndmask_b32_e64 v13, v17, v18, s[0:1]
	v_min_i32_e32 v12, v7, v12
	; wave barrier
	ds_read_u8 v11, v11
	; wave barrier
	ds_write_b32 v8, v13
	v_add_u32_e32 v13, 4, v12
	v_min_i32_e32 v13, v7, v13
	v_sub_u32_e32 v15, v13, v12
	v_sub_u32_e32 v17, v12, v10
	;; [unrolled: 1-line block ×3, first 2 shown]
	v_cmp_ge_i32_e64 s[0:1], v14, v15
	v_cndmask_b32_e64 v15, 0, v18, s[0:1]
	v_min_i32_e32 v17, v14, v17
	v_lshl_add_u32 v16, v10, 2, v6
	v_cmp_lt_i32_e64 s[0:1], v15, v17
	; wave barrier
	s_and_saveexec_b64 s[2:3], s[0:1]
	s_cbranch_execz .LBB20_16
; %bb.13:
	v_lshlrev_b32_e32 v18, 2, v12
	v_lshlrev_b32_e32 v19, 2, v14
	v_add3_u32 v18, v6, v18, v19
	s_mov_b64 s[4:5], 0
.LBB20_14:                              ; =>This Inner Loop Header: Depth=1
	v_sub_u32_e32 v19, v17, v15
	v_lshrrev_b32_e32 v19, 1, v19
	v_add_u32_e32 v19, v19, v15
	v_not_b32_e32 v21, v19
	v_lshl_add_u32 v20, v19, 2, v16
	v_lshl_add_u32 v21, v21, 2, v18
	ds_read_b32 v20, v20
	ds_read_b32 v21, v21
	v_add_u32_e32 v22, 1, v19
	s_waitcnt lgkmcnt(0)
	v_cmp_lt_f32_e64 s[0:1], v21, v20
	v_cndmask_b32_e64 v17, v17, v19, s[0:1]
	v_cndmask_b32_e64 v15, v22, v15, s[0:1]
	v_cmp_ge_i32_e64 s[0:1], v15, v17
	s_or_b64 s[4:5], s[0:1], s[4:5]
	s_andn2_b64 exec, exec, s[4:5]
	s_cbranch_execnz .LBB20_14
; %bb.15:
	s_or_b64 exec, exec, s[4:5]
.LBB20_16:
	s_or_b64 exec, exec, s[2:3]
	v_add_u32_e32 v14, v12, v14
	v_sub_u32_e32 v14, v14, v15
	v_lshl_add_u32 v16, v15, 2, v16
	v_lshl_add_u32 v17, v14, 2, v6
	ds_read_b32 v16, v16
	ds_read_b32 v17, v17
	v_add_u32_e32 v10, v15, v10
	v_cmp_le_i32_e64 s[2:3], v12, v10
	v_cmp_gt_i32_e64 s[0:1], v13, v14
	s_waitcnt lgkmcnt(0)
	v_cmp_lt_f32_e64 s[4:5], v17, v16
	s_or_b64 s[2:3], s[2:3], s[4:5]
	s_and_b64 s[0:1], s[0:1], s[2:3]
	v_cndmask_b32_e64 v10, v10, v14, s[0:1]
	v_add_u32_e32 v10, v6, v10
	v_cndmask_b32_e64 v12, v16, v17, s[0:1]
	; wave barrier
	ds_write_b8 v9, v11
	; wave barrier
	ds_read_u8 v11, v10
	v_min_i32_e32 v10, 0, v7
	; wave barrier
	ds_write_b32 v8, v12
	v_add_u32_e32 v8, 8, v10
	v_min_i32_e32 v8, v7, v8
	v_add_u32_e32 v12, 8, v8
	v_min_i32_e32 v13, v7, v2
	v_min_i32_e32 v7, v7, v12
	v_sub_u32_e32 v12, v7, v8
	v_sub_u32_e32 v15, v8, v10
	;; [unrolled: 1-line block ×3, first 2 shown]
	v_cmp_ge_i32_e64 s[0:1], v13, v12
	v_cndmask_b32_e64 v12, 0, v16, s[0:1]
	v_min_i32_e32 v15, v13, v15
	v_lshl_add_u32 v14, v10, 2, v6
	v_cmp_lt_i32_e64 s[0:1], v12, v15
	; wave barrier
	s_and_saveexec_b64 s[2:3], s[0:1]
	s_cbranch_execz .LBB20_20
; %bb.17:
	v_lshlrev_b32_e32 v16, 2, v8
	v_lshlrev_b32_e32 v17, 2, v13
	v_add3_u32 v16, v6, v16, v17
	s_mov_b64 s[4:5], 0
.LBB20_18:                              ; =>This Inner Loop Header: Depth=1
	v_sub_u32_e32 v17, v15, v12
	v_lshrrev_b32_e32 v17, 1, v17
	v_add_u32_e32 v17, v17, v12
	v_not_b32_e32 v19, v17
	v_lshl_add_u32 v18, v17, 2, v14
	v_lshl_add_u32 v19, v19, 2, v16
	ds_read_b32 v18, v18
	ds_read_b32 v19, v19
	v_add_u32_e32 v20, 1, v17
	s_waitcnt lgkmcnt(0)
	v_cmp_lt_f32_e64 s[0:1], v19, v18
	v_cndmask_b32_e64 v15, v15, v17, s[0:1]
	v_cndmask_b32_e64 v12, v20, v12, s[0:1]
	v_cmp_ge_i32_e64 s[0:1], v12, v15
	s_or_b64 s[4:5], s[0:1], s[4:5]
	s_andn2_b64 exec, exec, s[4:5]
	s_cbranch_execnz .LBB20_18
; %bb.19:
	s_or_b64 exec, exec, s[4:5]
.LBB20_20:
	s_or_b64 exec, exec, s[2:3]
	v_add_u32_e32 v13, v8, v13
	v_sub_u32_e32 v13, v13, v12
	v_lshl_add_u32 v14, v12, 2, v14
	v_lshl_add_u32 v15, v13, 2, v6
	ds_read_b32 v14, v14
	ds_read_b32 v15, v15
	; wave barrier
	s_waitcnt lgkmcnt(3)
	ds_write_b8 v9, v11
	; wave barrier
	s_and_saveexec_b64 s[0:1], vcc
	s_cbranch_execz .LBB20_22
; %bb.21:
	v_add_u32_e32 v11, v12, v10
	v_add_co_u32_e32 v9, vcc, v1, v4
	v_addc_co_u32_e32 v10, vcc, 0, v3, vcc
	v_cmp_le_i32_e64 s[0:1], v8, v11
	s_waitcnt lgkmcnt(1)
	v_cmp_lt_f32_e64 s[2:3], v15, v14
	v_cmp_gt_i32_e32 vcc, v7, v13
	s_or_b64 s[0:1], s[0:1], s[2:3]
	s_and_b64 vcc, vcc, s[0:1]
	v_cndmask_b32_e32 v1, v11, v13, vcc
	v_add_u32_e32 v1, v6, v1
	ds_read_u8 v3, v1
	v_cndmask_b32_e32 v1, v14, v15, vcc
	v_add_co_u32_e32 v0, vcc, v0, v2
	global_store_dword v[9:10], v1, off
	v_addc_co_u32_e32 v1, vcc, 0, v5, vcc
	s_waitcnt lgkmcnt(0)
	global_store_byte v[0:1], v3, off
.LBB20_22:
	s_endpgm
	.section	.rodata,"a",@progbits
	.p2align	6, 0x0
	.amdhsa_kernel _Z26sort_keys_values_segmentedILj64ELj16ELj1ELb0EfcN10test_utils4lessEEvPT3_PT4_PKjT5_
		.amdhsa_group_segment_fixed_size 272
		.amdhsa_private_segment_fixed_size 0
		.amdhsa_kernarg_size 28
		.amdhsa_user_sgpr_count 6
		.amdhsa_user_sgpr_private_segment_buffer 1
		.amdhsa_user_sgpr_dispatch_ptr 0
		.amdhsa_user_sgpr_queue_ptr 0
		.amdhsa_user_sgpr_kernarg_segment_ptr 1
		.amdhsa_user_sgpr_dispatch_id 0
		.amdhsa_user_sgpr_flat_scratch_init 0
		.amdhsa_user_sgpr_private_segment_size 0
		.amdhsa_uses_dynamic_stack 0
		.amdhsa_system_sgpr_private_segment_wavefront_offset 0
		.amdhsa_system_sgpr_workgroup_id_x 1
		.amdhsa_system_sgpr_workgroup_id_y 0
		.amdhsa_system_sgpr_workgroup_id_z 0
		.amdhsa_system_sgpr_workgroup_info 0
		.amdhsa_system_vgpr_workitem_id 0
		.amdhsa_next_free_vgpr 24
		.amdhsa_next_free_sgpr 7
		.amdhsa_reserve_vcc 1
		.amdhsa_reserve_flat_scratch 0
		.amdhsa_float_round_mode_32 0
		.amdhsa_float_round_mode_16_64 0
		.amdhsa_float_denorm_mode_32 3
		.amdhsa_float_denorm_mode_16_64 3
		.amdhsa_dx10_clamp 1
		.amdhsa_ieee_mode 1
		.amdhsa_fp16_overflow 0
		.amdhsa_exception_fp_ieee_invalid_op 0
		.amdhsa_exception_fp_denorm_src 0
		.amdhsa_exception_fp_ieee_div_zero 0
		.amdhsa_exception_fp_ieee_overflow 0
		.amdhsa_exception_fp_ieee_underflow 0
		.amdhsa_exception_fp_ieee_inexact 0
		.amdhsa_exception_int_div_zero 0
	.end_amdhsa_kernel
	.section	.text._Z26sort_keys_values_segmentedILj64ELj16ELj1ELb0EfcN10test_utils4lessEEvPT3_PT4_PKjT5_,"axG",@progbits,_Z26sort_keys_values_segmentedILj64ELj16ELj1ELb0EfcN10test_utils4lessEEvPT3_PT4_PKjT5_,comdat
.Lfunc_end20:
	.size	_Z26sort_keys_values_segmentedILj64ELj16ELj1ELb0EfcN10test_utils4lessEEvPT3_PT4_PKjT5_, .Lfunc_end20-_Z26sort_keys_values_segmentedILj64ELj16ELj1ELb0EfcN10test_utils4lessEEvPT3_PT4_PKjT5_
                                        ; -- End function
	.set _Z26sort_keys_values_segmentedILj64ELj16ELj1ELb0EfcN10test_utils4lessEEvPT3_PT4_PKjT5_.num_vgpr, 24
	.set _Z26sort_keys_values_segmentedILj64ELj16ELj1ELb0EfcN10test_utils4lessEEvPT3_PT4_PKjT5_.num_agpr, 0
	.set _Z26sort_keys_values_segmentedILj64ELj16ELj1ELb0EfcN10test_utils4lessEEvPT3_PT4_PKjT5_.numbered_sgpr, 7
	.set _Z26sort_keys_values_segmentedILj64ELj16ELj1ELb0EfcN10test_utils4lessEEvPT3_PT4_PKjT5_.num_named_barrier, 0
	.set _Z26sort_keys_values_segmentedILj64ELj16ELj1ELb0EfcN10test_utils4lessEEvPT3_PT4_PKjT5_.private_seg_size, 0
	.set _Z26sort_keys_values_segmentedILj64ELj16ELj1ELb0EfcN10test_utils4lessEEvPT3_PT4_PKjT5_.uses_vcc, 1
	.set _Z26sort_keys_values_segmentedILj64ELj16ELj1ELb0EfcN10test_utils4lessEEvPT3_PT4_PKjT5_.uses_flat_scratch, 0
	.set _Z26sort_keys_values_segmentedILj64ELj16ELj1ELb0EfcN10test_utils4lessEEvPT3_PT4_PKjT5_.has_dyn_sized_stack, 0
	.set _Z26sort_keys_values_segmentedILj64ELj16ELj1ELb0EfcN10test_utils4lessEEvPT3_PT4_PKjT5_.has_recursion, 0
	.set _Z26sort_keys_values_segmentedILj64ELj16ELj1ELb0EfcN10test_utils4lessEEvPT3_PT4_PKjT5_.has_indirect_call, 0
	.section	.AMDGPU.csdata,"",@progbits
; Kernel info:
; codeLenInByte = 1640
; TotalNumSgprs: 11
; NumVgprs: 24
; ScratchSize: 0
; MemoryBound: 0
; FloatMode: 240
; IeeeMode: 1
; LDSByteSize: 272 bytes/workgroup (compile time only)
; SGPRBlocks: 1
; VGPRBlocks: 5
; NumSGPRsForWavesPerEU: 11
; NumVGPRsForWavesPerEU: 24
; Occupancy: 10
; WaveLimiterHint : 0
; COMPUTE_PGM_RSRC2:SCRATCH_EN: 0
; COMPUTE_PGM_RSRC2:USER_SGPR: 6
; COMPUTE_PGM_RSRC2:TRAP_HANDLER: 0
; COMPUTE_PGM_RSRC2:TGID_X_EN: 1
; COMPUTE_PGM_RSRC2:TGID_Y_EN: 0
; COMPUTE_PGM_RSRC2:TGID_Z_EN: 0
; COMPUTE_PGM_RSRC2:TIDIG_COMP_CNT: 0
	.section	.text._Z26sort_keys_values_segmentedILj256ELj2ELj1ELb0EjiN10test_utils4lessEEvPT3_PT4_PKjT5_,"axG",@progbits,_Z26sort_keys_values_segmentedILj256ELj2ELj1ELb0EjiN10test_utils4lessEEvPT3_PT4_PKjT5_,comdat
	.protected	_Z26sort_keys_values_segmentedILj256ELj2ELj1ELb0EjiN10test_utils4lessEEvPT3_PT4_PKjT5_ ; -- Begin function _Z26sort_keys_values_segmentedILj256ELj2ELj1ELb0EjiN10test_utils4lessEEvPT3_PT4_PKjT5_
	.globl	_Z26sort_keys_values_segmentedILj256ELj2ELj1ELb0EjiN10test_utils4lessEEvPT3_PT4_PKjT5_
	.p2align	8
	.type	_Z26sort_keys_values_segmentedILj256ELj2ELj1ELb0EjiN10test_utils4lessEEvPT3_PT4_PKjT5_,@function
_Z26sort_keys_values_segmentedILj256ELj2ELj1ELb0EjiN10test_utils4lessEEvPT3_PT4_PKjT5_: ; @_Z26sort_keys_values_segmentedILj256ELj2ELj1ELb0EjiN10test_utils4lessEEvPT3_PT4_PKjT5_
; %bb.0:
	s_load_dwordx2 s[0:1], s[4:5], 0x10
	v_lshrrev_b32_e32 v9, 1, v0
	v_lshl_or_b32 v0, s6, 7, v9
	v_mov_b32_e32 v1, 0
	v_lshlrev_b64 v[2:3], 2, v[0:1]
	s_waitcnt lgkmcnt(0)
	v_mov_b32_e32 v4, s1
	v_add_co_u32_e32 v2, vcc, s0, v2
	v_addc_co_u32_e32 v3, vcc, v4, v3, vcc
	global_load_dword v8, v[2:3], off
	s_load_dwordx4 s[0:3], s[4:5], 0x0
	v_lshlrev_b32_e32 v0, 1, v0
	v_mbcnt_lo_u32_b32 v2, -1, 0
	v_lshlrev_b64 v[0:1], 2, v[0:1]
	v_mbcnt_hi_u32_b32 v2, -1, v2
	v_and_b32_e32 v7, 1, v2
	s_waitcnt lgkmcnt(0)
	v_mov_b32_e32 v2, s1
	v_add_co_u32_e32 v3, vcc, s0, v0
	v_addc_co_u32_e32 v4, vcc, v2, v1, vcc
	v_lshlrev_b32_e32 v2, 2, v7
                                        ; implicit-def: $vgpr10
	s_waitcnt vmcnt(0)
	v_cmp_lt_u32_e32 vcc, v7, v8
	s_and_saveexec_b64 s[4:5], vcc
	s_cbranch_execz .LBB21_2
; %bb.1:
	v_add_co_u32_e64 v5, s[0:1], v3, v2
	v_addc_co_u32_e64 v6, s[0:1], 0, v4, s[0:1]
	global_load_dword v10, v[5:6], off
.LBB21_2:
	s_or_b64 exec, exec, s[4:5]
	v_mov_b32_e32 v5, s3
	v_add_co_u32_e64 v0, s[0:1], s2, v0
	v_addc_co_u32_e64 v1, s[0:1], v5, v1, s[0:1]
                                        ; implicit-def: $vgpr6
	s_and_saveexec_b64 s[2:3], vcc
	s_cbranch_execz .LBB21_4
; %bb.3:
	v_add_co_u32_e64 v5, s[0:1], v0, v2
	v_addc_co_u32_e64 v6, s[0:1], 0, v1, s[0:1]
	global_load_dword v6, v[5:6], off
.LBB21_4:
	s_or_b64 exec, exec, s[2:3]
	v_mad_u32_u24 v11, v9, 12, v2
	; wave barrier
	s_waitcnt vmcnt(0)
	ds_write_b32 v11, v10
	v_min_i32_e32 v10, 0, v8
	v_min_i32_e32 v12, v8, v7
	v_add_u32_e32 v7, 1, v10
	v_min_i32_e32 v7, v8, v7
	v_add_u32_e32 v13, 1, v7
	v_min_i32_e32 v8, v8, v13
	v_sub_u32_e32 v15, v8, v7
	v_lshlrev_b32_e32 v13, 2, v10
	v_mul_u32_u24_e32 v5, 12, v9
	v_sub_u32_e32 v14, v7, v10
	v_mad_u32_u24 v13, v9, 12, v13
	v_sub_u32_e32 v9, v12, v15
	v_cmp_ge_i32_e64 s[0:1], v12, v15
	v_cndmask_b32_e64 v9, 0, v9, s[0:1]
	v_min_i32_e32 v14, v12, v14
	v_cmp_lt_i32_e64 s[0:1], v9, v14
	; wave barrier
	s_and_saveexec_b64 s[2:3], s[0:1]
	s_cbranch_execz .LBB21_8
; %bb.5:
	v_lshlrev_b32_e32 v15, 2, v7
	v_lshlrev_b32_e32 v16, 2, v12
	v_add3_u32 v15, v5, v15, v16
	s_mov_b64 s[4:5], 0
.LBB21_6:                               ; =>This Inner Loop Header: Depth=1
	v_sub_u32_e32 v16, v14, v9
	v_lshrrev_b32_e32 v16, 1, v16
	v_add_u32_e32 v16, v16, v9
	v_not_b32_e32 v18, v16
	v_lshl_add_u32 v17, v16, 2, v13
	v_lshl_add_u32 v18, v18, 2, v15
	ds_read_b32 v17, v17
	ds_read_b32 v18, v18
	v_add_u32_e32 v19, 1, v16
	s_waitcnt lgkmcnt(0)
	v_cmp_lt_u32_e64 s[0:1], v18, v17
	v_cndmask_b32_e64 v14, v14, v16, s[0:1]
	v_cndmask_b32_e64 v9, v19, v9, s[0:1]
	v_cmp_ge_i32_e64 s[0:1], v9, v14
	s_or_b64 s[4:5], s[0:1], s[4:5]
	s_andn2_b64 exec, exec, s[4:5]
	s_cbranch_execnz .LBB21_6
; %bb.7:
	s_or_b64 exec, exec, s[4:5]
.LBB21_8:
	s_or_b64 exec, exec, s[2:3]
	v_add_u32_e32 v12, v7, v12
	v_sub_u32_e32 v12, v12, v9
	v_lshl_add_u32 v13, v9, 2, v13
	v_lshl_add_u32 v14, v12, 2, v5
	ds_read_b32 v13, v13
	ds_read_b32 v14, v14
	; wave barrier
	ds_write_b32 v11, v6
	; wave barrier
	s_and_saveexec_b64 s[0:1], vcc
	s_cbranch_execz .LBB21_10
; %bb.9:
	v_add_u32_e32 v6, v9, v10
	v_add_co_u32_e32 v3, vcc, v3, v2
	v_addc_co_u32_e32 v4, vcc, 0, v4, vcc
	v_cmp_le_i32_e64 s[0:1], v7, v6
	s_waitcnt lgkmcnt(1)
	v_cmp_lt_u32_e64 s[2:3], v14, v13
	v_cmp_gt_i32_e32 vcc, v8, v12
	s_or_b64 s[0:1], s[0:1], s[2:3]
	s_and_b64 vcc, vcc, s[0:1]
	v_cndmask_b32_e32 v6, v6, v12, vcc
	v_lshl_add_u32 v5, v6, 2, v5
	ds_read_b32 v5, v5
	v_cndmask_b32_e32 v6, v13, v14, vcc
	v_add_co_u32_e32 v0, vcc, v0, v2
	v_addc_co_u32_e32 v1, vcc, 0, v1, vcc
	global_store_dword v[3:4], v6, off
	s_waitcnt lgkmcnt(0)
	global_store_dword v[0:1], v5, off
.LBB21_10:
	s_endpgm
	.section	.rodata,"a",@progbits
	.p2align	6, 0x0
	.amdhsa_kernel _Z26sort_keys_values_segmentedILj256ELj2ELj1ELb0EjiN10test_utils4lessEEvPT3_PT4_PKjT5_
		.amdhsa_group_segment_fixed_size 1536
		.amdhsa_private_segment_fixed_size 0
		.amdhsa_kernarg_size 28
		.amdhsa_user_sgpr_count 6
		.amdhsa_user_sgpr_private_segment_buffer 1
		.amdhsa_user_sgpr_dispatch_ptr 0
		.amdhsa_user_sgpr_queue_ptr 0
		.amdhsa_user_sgpr_kernarg_segment_ptr 1
		.amdhsa_user_sgpr_dispatch_id 0
		.amdhsa_user_sgpr_flat_scratch_init 0
		.amdhsa_user_sgpr_private_segment_size 0
		.amdhsa_uses_dynamic_stack 0
		.amdhsa_system_sgpr_private_segment_wavefront_offset 0
		.amdhsa_system_sgpr_workgroup_id_x 1
		.amdhsa_system_sgpr_workgroup_id_y 0
		.amdhsa_system_sgpr_workgroup_id_z 0
		.amdhsa_system_sgpr_workgroup_info 0
		.amdhsa_system_vgpr_workitem_id 0
		.amdhsa_next_free_vgpr 20
		.amdhsa_next_free_sgpr 7
		.amdhsa_reserve_vcc 1
		.amdhsa_reserve_flat_scratch 0
		.amdhsa_float_round_mode_32 0
		.amdhsa_float_round_mode_16_64 0
		.amdhsa_float_denorm_mode_32 3
		.amdhsa_float_denorm_mode_16_64 3
		.amdhsa_dx10_clamp 1
		.amdhsa_ieee_mode 1
		.amdhsa_fp16_overflow 0
		.amdhsa_exception_fp_ieee_invalid_op 0
		.amdhsa_exception_fp_denorm_src 0
		.amdhsa_exception_fp_ieee_div_zero 0
		.amdhsa_exception_fp_ieee_overflow 0
		.amdhsa_exception_fp_ieee_underflow 0
		.amdhsa_exception_fp_ieee_inexact 0
		.amdhsa_exception_int_div_zero 0
	.end_amdhsa_kernel
	.section	.text._Z26sort_keys_values_segmentedILj256ELj2ELj1ELb0EjiN10test_utils4lessEEvPT3_PT4_PKjT5_,"axG",@progbits,_Z26sort_keys_values_segmentedILj256ELj2ELj1ELb0EjiN10test_utils4lessEEvPT3_PT4_PKjT5_,comdat
.Lfunc_end21:
	.size	_Z26sort_keys_values_segmentedILj256ELj2ELj1ELb0EjiN10test_utils4lessEEvPT3_PT4_PKjT5_, .Lfunc_end21-_Z26sort_keys_values_segmentedILj256ELj2ELj1ELb0EjiN10test_utils4lessEEvPT3_PT4_PKjT5_
                                        ; -- End function
	.set _Z26sort_keys_values_segmentedILj256ELj2ELj1ELb0EjiN10test_utils4lessEEvPT3_PT4_PKjT5_.num_vgpr, 20
	.set _Z26sort_keys_values_segmentedILj256ELj2ELj1ELb0EjiN10test_utils4lessEEvPT3_PT4_PKjT5_.num_agpr, 0
	.set _Z26sort_keys_values_segmentedILj256ELj2ELj1ELb0EjiN10test_utils4lessEEvPT3_PT4_PKjT5_.numbered_sgpr, 7
	.set _Z26sort_keys_values_segmentedILj256ELj2ELj1ELb0EjiN10test_utils4lessEEvPT3_PT4_PKjT5_.num_named_barrier, 0
	.set _Z26sort_keys_values_segmentedILj256ELj2ELj1ELb0EjiN10test_utils4lessEEvPT3_PT4_PKjT5_.private_seg_size, 0
	.set _Z26sort_keys_values_segmentedILj256ELj2ELj1ELb0EjiN10test_utils4lessEEvPT3_PT4_PKjT5_.uses_vcc, 1
	.set _Z26sort_keys_values_segmentedILj256ELj2ELj1ELb0EjiN10test_utils4lessEEvPT3_PT4_PKjT5_.uses_flat_scratch, 0
	.set _Z26sort_keys_values_segmentedILj256ELj2ELj1ELb0EjiN10test_utils4lessEEvPT3_PT4_PKjT5_.has_dyn_sized_stack, 0
	.set _Z26sort_keys_values_segmentedILj256ELj2ELj1ELb0EjiN10test_utils4lessEEvPT3_PT4_PKjT5_.has_recursion, 0
	.set _Z26sort_keys_values_segmentedILj256ELj2ELj1ELb0EjiN10test_utils4lessEEvPT3_PT4_PKjT5_.has_indirect_call, 0
	.section	.AMDGPU.csdata,"",@progbits
; Kernel info:
; codeLenInByte = 608
; TotalNumSgprs: 11
; NumVgprs: 20
; ScratchSize: 0
; MemoryBound: 0
; FloatMode: 240
; IeeeMode: 1
; LDSByteSize: 1536 bytes/workgroup (compile time only)
; SGPRBlocks: 1
; VGPRBlocks: 4
; NumSGPRsForWavesPerEU: 11
; NumVGPRsForWavesPerEU: 20
; Occupancy: 10
; WaveLimiterHint : 0
; COMPUTE_PGM_RSRC2:SCRATCH_EN: 0
; COMPUTE_PGM_RSRC2:USER_SGPR: 6
; COMPUTE_PGM_RSRC2:TRAP_HANDLER: 0
; COMPUTE_PGM_RSRC2:TGID_X_EN: 1
; COMPUTE_PGM_RSRC2:TGID_Y_EN: 0
; COMPUTE_PGM_RSRC2:TGID_Z_EN: 0
; COMPUTE_PGM_RSRC2:TIDIG_COMP_CNT: 0
	.section	.text._Z14sort_keys_fullILj256ELj32ELj7ELb0EiN10test_utils7greaterEEvPT3_T4_,"axG",@progbits,_Z14sort_keys_fullILj256ELj32ELj7ELb0EiN10test_utils7greaterEEvPT3_T4_,comdat
	.protected	_Z14sort_keys_fullILj256ELj32ELj7ELb0EiN10test_utils7greaterEEvPT3_T4_ ; -- Begin function _Z14sort_keys_fullILj256ELj32ELj7ELb0EiN10test_utils7greaterEEvPT3_T4_
	.globl	_Z14sort_keys_fullILj256ELj32ELj7ELb0EiN10test_utils7greaterEEvPT3_T4_
	.p2align	8
	.type	_Z14sort_keys_fullILj256ELj32ELj7ELb0EiN10test_utils7greaterEEvPT3_T4_,@function
_Z14sort_keys_fullILj256ELj32ELj7ELb0EiN10test_utils7greaterEEvPT3_T4_: ; @_Z14sort_keys_fullILj256ELj32ELj7ELb0EiN10test_utils7greaterEEvPT3_T4_
; %bb.0:
	s_load_dwordx2 s[0:1], s[4:5], 0x0
	s_mul_i32 s2, s6, 0x700
	s_mov_b32 s3, 0
	s_lshl_b64 s[2:3], s[2:3], 2
	v_mul_u32_u24_e32 v1, 7, v0
	s_waitcnt lgkmcnt(0)
	s_add_u32 s0, s0, s2
	s_addc_u32 s1, s1, s3
	v_lshlrev_b32_e32 v2, 2, v1
	global_load_dwordx4 v[10:13], v2, s[0:1]
	global_load_dwordx3 v[14:16], v2, s[0:1] offset:16
	v_mov_b32_e32 v4, s1
	v_add_co_u32_e32 v3, vcc, s0, v2
	v_addc_co_u32_e32 v4, vcc, 0, v4, vcc
	v_mbcnt_lo_u32_b32 v1, -1, 0
	v_mbcnt_hi_u32_b32 v6, -1, v1
	v_and_b32_e32 v1, 31, v6
	s_movk_i32 s4, 0x384
	v_lshrrev_b32_e32 v0, 5, v0
	; wave barrier
	v_mov_b32_e32 v9, 0
	s_waitcnt vmcnt(1)
	v_cmp_gt_i32_e32 vcc, v11, v10
	v_min_i32_e32 v7, v11, v10
	v_cmp_gt_i32_e64 s[0:1], v13, v12
	v_max_i32_e32 v18, v13, v12
	v_cndmask_b32_e32 v2, v10, v11, vcc
	v_max_i32_e32 v5, v11, v10
	v_min_i32_e32 v17, v13, v12
	s_waitcnt vmcnt(0)
	v_cmp_gt_i32_e64 s[2:3], v15, v14
	v_min_i32_e32 v20, v15, v14
	v_max_i32_e32 v21, v15, v14
	v_cndmask_b32_e32 v10, v11, v10, vcc
	v_cndmask_b32_e64 v11, v12, v13, s[0:1]
	v_cmp_gt_i32_e32 vcc, v18, v7
	v_cndmask_b32_e64 v8, v13, v12, s[0:1]
	v_cndmask_b32_e64 v19, v15, v14, s[2:3]
	;; [unrolled: 1-line block ×3, first 2 shown]
	v_min_i32_e32 v13, v18, v7
	v_max_i32_e32 v14, v18, v7
	v_cndmask_b32_e32 v7, v11, v7, vcc
	v_max_i32_e32 v11, v21, v17
	v_cmp_gt_i32_e64 s[0:1], v21, v17
	v_cmp_gt_i32_e64 s[2:3], v16, v20
	v_min_i32_e32 v15, v21, v17
	v_cndmask_b32_e64 v12, v12, v17, s[0:1]
	v_cndmask_b32_e64 v17, v16, v20, s[2:3]
	;; [unrolled: 1-line block ×3, first 2 shown]
	v_min_i32_e32 v21, v16, v20
	v_max_i32_e32 v20, v16, v20
	v_cndmask_b32_e32 v10, v10, v18, vcc
	v_cmp_gt_i32_e32 vcc, v18, v5
	v_cmp_gt_i32_e64 s[0:1], v11, v13
	v_cndmask_b32_e64 v16, v19, v16, s[2:3]
	v_cndmask_b32_e32 v2, v2, v14, vcc
	v_cndmask_b32_e32 v18, v5, v14, vcc
	;; [unrolled: 1-line block ×3, first 2 shown]
	v_max_i32_e32 v22, v11, v13
	v_cndmask_b32_e64 v8, v8, v13, s[0:1]
	v_cndmask_b32_e64 v7, v7, v11, s[0:1]
	v_cmp_gt_i32_e64 s[0:1], v20, v15
	v_min_i32_e32 v19, v11, v13
	v_cndmask_b32_e32 v5, v10, v5, vcc
	v_max_i32_e32 v10, v20, v15
	v_cndmask_b32_e64 v11, v16, v15, s[0:1]
	v_cndmask_b32_e64 v12, v12, v20, s[0:1]
	v_cmp_gt_i32_e64 s[0:1], v22, v14
	v_min_i32_e32 v23, v20, v15
	v_cmp_lt_i32_e32 vcc, v15, v21
	v_max_i32_e32 v15, v22, v14
	v_cndmask_b32_e64 v7, v7, v14, s[0:1]
	v_cndmask_b32_e64 v5, v5, v22, s[0:1]
	v_cmp_gt_i32_e64 s[0:1], v10, v19
	v_min_i32_e32 v13, v22, v14
	v_min_i32_e32 v16, v10, v19
	v_max_i32_e32 v20, v10, v19
	v_cndmask_b32_e32 v17, v17, v23, vcc
	v_cndmask_b32_e32 v14, v21, v23, vcc
	;; [unrolled: 1-line block ×3, first 2 shown]
	v_cndmask_b32_e64 v8, v8, v10, s[0:1]
	v_cndmask_b32_e32 v10, v11, v21, vcc
	v_cmp_gt_i32_e32 vcc, v15, v18
	v_cndmask_b32_e32 v2, v2, v15, vcc
	v_cndmask_b32_e32 v5, v5, v18, vcc
	v_cmp_gt_i32_e32 vcc, v20, v13
	v_cndmask_b32_e64 v12, v12, v19, s[0:1]
	v_max_i32_e32 v11, v15, v18
	v_min_i32_e32 v15, v15, v18
	v_max_i32_e32 v21, v20, v13
	v_cndmask_b32_e32 v8, v8, v13, vcc
	v_cndmask_b32_e32 v7, v7, v20, vcc
	v_cmp_gt_i32_e32 vcc, v23, v16
	v_min_i32_e32 v19, v20, v13
	v_cndmask_b32_e32 v10, v10, v16, vcc
	v_cndmask_b32_e32 v12, v12, v23, vcc
	v_min_i32_e32 v13, v23, v16
	v_max_i32_e32 v16, v23, v16
	v_cmp_gt_i32_e32 vcc, v21, v15
	v_cndmask_b32_e32 v7, v7, v15, vcc
	v_cndmask_b32_e32 v5, v5, v21, vcc
	v_cmp_gt_i32_e32 vcc, v16, v19
	v_cndmask_b32_e32 v12, v12, v19, vcc
	v_cndmask_b32_e32 v8, v8, v16, vcc
	v_cmp_gt_i32_e32 vcc, v14, v13
	v_min_i32_e32 v18, v21, v15
	v_max_i32_e32 v15, v21, v15
	v_cndmask_b32_e32 v17, v17, v13, vcc
	v_cndmask_b32_e32 v10, v10, v14, vcc
	v_cmp_gt_i32_e32 vcc, v21, v11
	v_min_i32_e32 v20, v16, v19
	v_max_i32_e32 v16, v16, v19
	v_max_i32_e32 v13, v14, v13
	v_cndmask_b32_e32 v14, v2, v15, vcc
	v_mul_u32_u24_e32 v2, 7, v1
	v_cndmask_b32_e32 v11, v5, v11, vcc
	v_cmp_gt_i32_e32 vcc, v16, v18
	v_lshlrev_b32_e32 v5, 2, v2
	v_cndmask_b32_e32 v8, v8, v18, vcc
	v_cndmask_b32_e32 v7, v7, v16, vcc
	v_cmp_gt_i32_e32 vcc, v13, v20
	v_mad_u32_u24 v5, v0, s4, v5
	v_cndmask_b32_e32 v10, v10, v20, vcc
	v_cndmask_b32_e32 v12, v12, v13, vcc
	ds_write2_b32 v5, v14, v11 offset1:1
	ds_write2_b32 v5, v7, v8 offset0:2 offset1:3
	ds_write2_b32 v5, v12, v10 offset0:4 offset1:5
	ds_write_b32 v5, v17 offset:24
	v_and_b32_e32 v7, 30, v6
	v_mul_u32_u24_e32 v14, 7, v7
	v_and_b32_e32 v7, 1, v6
	v_cmp_eq_u32_e32 vcc, 1, v7
	v_lshlrev_b32_e32 v7, 2, v14
	v_mad_u32_u24 v10, v0, s4, v7
	; wave barrier
	s_and_saveexec_b64 s[2:3], vcc
	s_cbranch_execz .LBB22_4
; %bb.1:
	v_mov_b32_e32 v7, 7
	v_mov_b32_e32 v9, 0
	s_mov_b64 s[4:5], 0
.LBB22_2:                               ; =>This Inner Loop Header: Depth=1
	v_sub_u32_e32 v8, v7, v9
	v_lshrrev_b32_e32 v8, 1, v8
	v_add_u32_e32 v8, v8, v9
	v_lshlrev_b32_e32 v11, 2, v8
	v_add_u32_e32 v12, v10, v11
	v_sub_u32_e32 v11, v10, v11
	ds_read_b32 v12, v12
	ds_read_b32 v11, v11 offset:52
	v_add_u32_e32 v13, 1, v8
	s_waitcnt lgkmcnt(0)
	v_cmp_gt_i32_e64 s[0:1], v11, v12
	v_cndmask_b32_e64 v7, v7, v8, s[0:1]
	v_cndmask_b32_e64 v9, v13, v9, s[0:1]
	v_cmp_ge_i32_e64 s[0:1], v9, v7
	s_or_b64 s[4:5], s[0:1], s[4:5]
	s_andn2_b64 exec, exec, s[4:5]
	s_cbranch_execnz .LBB22_2
; %bb.3:
	s_or_b64 exec, exec, s[4:5]
.LBB22_4:
	s_or_b64 exec, exec, s[2:3]
	v_cndmask_b32_e64 v12, 0, 7, vcc
	v_lshl_add_u32 v13, v9, 2, v10
	v_add_u32_e32 v10, v14, v12
	v_mul_u32_u24_e32 v0, 0x384, v0
	v_sub_u32_e32 v10, v10, v9
	v_lshl_add_u32 v16, v10, 2, v0
	ds_read_b32 v10, v13
	ds_read_b32 v11, v16 offset:28
	v_add_u32_e32 v7, 7, v14
	v_add_u32_e32 v12, v7, v12
	;; [unrolled: 1-line block ×3, first 2 shown]
	v_sub_u32_e32 v15, v12, v9
	v_cmp_lt_i32_e64 s[0:1], 6, v9
	s_waitcnt lgkmcnt(0)
	v_cmp_gt_i32_e64 s[2:3], v11, v10
	v_cmp_gt_i32_e32 vcc, v8, v15
	s_or_b64 s[0:1], s[0:1], s[2:3]
	s_and_b64 vcc, vcc, s[0:1]
	s_xor_b64 s[0:1], vcc, -1
                                        ; implicit-def: $vgpr12
	s_and_saveexec_b64 s[2:3], s[0:1]
	s_xor_b64 s[0:1], exec, s[2:3]
; %bb.5:
	ds_read_b32 v12, v13 offset:4
                                        ; implicit-def: $vgpr16
; %bb.6:
	s_or_saveexec_b64 s[0:1], s[0:1]
	v_mov_b32_e32 v13, v11
	s_xor_b64 exec, exec, s[0:1]
	s_cbranch_execz .LBB22_8
; %bb.7:
	ds_read_b32 v13, v16 offset:32
	s_waitcnt lgkmcnt(1)
	v_mov_b32_e32 v12, v10
.LBB22_8:
	s_or_b64 exec, exec, s[0:1]
	v_add_u32_e32 v9, v9, v14
	v_add_u32_e32 v16, 1, v9
	;; [unrolled: 1-line block ×3, first 2 shown]
	v_cndmask_b32_e32 v16, v16, v9, vcc
	v_cndmask_b32_e32 v15, v15, v14, vcc
	v_cmp_ge_i32_e64 s[2:3], v16, v7
	s_waitcnt lgkmcnt(0)
	v_cmp_gt_i32_e64 s[4:5], v13, v12
	v_cmp_lt_i32_e64 s[0:1], v15, v8
	s_or_b64 s[2:3], s[2:3], s[4:5]
	s_and_b64 s[0:1], s[0:1], s[2:3]
	s_xor_b64 s[2:3], s[0:1], -1
                                        ; implicit-def: $vgpr9
	s_and_saveexec_b64 s[4:5], s[2:3]
	s_xor_b64 s[2:3], exec, s[4:5]
; %bb.9:
	v_lshl_add_u32 v9, v16, 2, v0
	ds_read_b32 v9, v9 offset:4
; %bb.10:
	s_or_saveexec_b64 s[2:3], s[2:3]
	v_mov_b32_e32 v14, v13
	s_xor_b64 exec, exec, s[2:3]
	s_cbranch_execz .LBB22_12
; %bb.11:
	s_waitcnt lgkmcnt(0)
	v_lshl_add_u32 v9, v15, 2, v0
	ds_read_b32 v14, v9 offset:4
	v_mov_b32_e32 v9, v12
.LBB22_12:
	s_or_b64 exec, exec, s[2:3]
	v_add_u32_e32 v18, 1, v16
	v_add_u32_e32 v17, 1, v15
	v_cndmask_b32_e64 v18, v18, v16, s[0:1]
	v_cndmask_b32_e64 v17, v15, v17, s[0:1]
	v_cmp_ge_i32_e64 s[4:5], v18, v7
	s_waitcnt lgkmcnt(0)
	v_cmp_gt_i32_e64 s[6:7], v14, v9
	v_cmp_lt_i32_e64 s[2:3], v17, v8
	s_or_b64 s[4:5], s[4:5], s[6:7]
	s_and_b64 s[2:3], s[2:3], s[4:5]
	s_xor_b64 s[4:5], s[2:3], -1
                                        ; implicit-def: $vgpr15
	s_and_saveexec_b64 s[6:7], s[4:5]
	s_xor_b64 s[4:5], exec, s[6:7]
; %bb.13:
	v_lshl_add_u32 v15, v18, 2, v0
	ds_read_b32 v15, v15 offset:4
; %bb.14:
	s_or_saveexec_b64 s[4:5], s[4:5]
	v_mov_b32_e32 v16, v14
	s_xor_b64 exec, exec, s[4:5]
	s_cbranch_execz .LBB22_16
; %bb.15:
	s_waitcnt lgkmcnt(0)
	v_lshl_add_u32 v15, v17, 2, v0
	ds_read_b32 v16, v15 offset:4
	v_mov_b32_e32 v15, v9
.LBB22_16:
	s_or_b64 exec, exec, s[4:5]
	v_add_u32_e32 v20, 1, v18
	v_add_u32_e32 v19, 1, v17
	v_cndmask_b32_e64 v20, v20, v18, s[2:3]
	v_cndmask_b32_e64 v19, v17, v19, s[2:3]
	v_cmp_ge_i32_e64 s[6:7], v20, v7
	s_waitcnt lgkmcnt(0)
	v_cmp_gt_i32_e64 s[8:9], v16, v15
	v_cmp_lt_i32_e64 s[4:5], v19, v8
	s_or_b64 s[6:7], s[6:7], s[8:9]
	s_and_b64 s[4:5], s[4:5], s[6:7]
	s_xor_b64 s[6:7], s[4:5], -1
                                        ; implicit-def: $vgpr17
	s_and_saveexec_b64 s[8:9], s[6:7]
	s_xor_b64 s[6:7], exec, s[8:9]
; %bb.17:
	v_lshl_add_u32 v17, v20, 2, v0
	ds_read_b32 v17, v17 offset:4
; %bb.18:
	s_or_saveexec_b64 s[6:7], s[6:7]
	v_mov_b32_e32 v18, v16
	s_xor_b64 exec, exec, s[6:7]
	s_cbranch_execz .LBB22_20
; %bb.19:
	s_waitcnt lgkmcnt(0)
	v_lshl_add_u32 v17, v19, 2, v0
	ds_read_b32 v18, v17 offset:4
	v_mov_b32_e32 v17, v15
.LBB22_20:
	s_or_b64 exec, exec, s[6:7]
	v_add_u32_e32 v22, 1, v20
	v_add_u32_e32 v21, 1, v19
	v_cndmask_b32_e64 v22, v22, v20, s[4:5]
	v_cndmask_b32_e64 v21, v19, v21, s[4:5]
	v_cmp_ge_i32_e64 s[8:9], v22, v7
	s_waitcnt lgkmcnt(0)
	v_cmp_gt_i32_e64 s[10:11], v18, v17
	v_cmp_lt_i32_e64 s[6:7], v21, v8
	s_or_b64 s[8:9], s[8:9], s[10:11]
	s_and_b64 s[6:7], s[6:7], s[8:9]
	s_xor_b64 s[8:9], s[6:7], -1
                                        ; implicit-def: $vgpr19
	s_and_saveexec_b64 s[10:11], s[8:9]
	s_xor_b64 s[8:9], exec, s[10:11]
; %bb.21:
	v_lshl_add_u32 v19, v22, 2, v0
	ds_read_b32 v19, v19 offset:4
; %bb.22:
	s_or_saveexec_b64 s[8:9], s[8:9]
	v_mov_b32_e32 v20, v18
	s_xor_b64 exec, exec, s[8:9]
	s_cbranch_execz .LBB22_24
; %bb.23:
	s_waitcnt lgkmcnt(0)
	v_lshl_add_u32 v19, v21, 2, v0
	ds_read_b32 v20, v19 offset:4
	v_mov_b32_e32 v19, v17
.LBB22_24:
	s_or_b64 exec, exec, s[8:9]
	v_add_u32_e32 v24, 1, v22
	v_add_u32_e32 v23, 1, v21
	v_cndmask_b32_e64 v22, v24, v22, s[6:7]
	v_cndmask_b32_e64 v21, v21, v23, s[6:7]
	v_cmp_ge_i32_e64 s[10:11], v22, v7
	s_waitcnt lgkmcnt(0)
	v_cmp_gt_i32_e64 s[12:13], v20, v19
	v_cmp_lt_i32_e64 s[8:9], v21, v8
	s_or_b64 s[10:11], s[10:11], s[12:13]
	s_and_b64 s[8:9], s[8:9], s[10:11]
	s_xor_b64 s[10:11], s[8:9], -1
                                        ; implicit-def: $vgpr23
	s_and_saveexec_b64 s[12:13], s[10:11]
	s_xor_b64 s[10:11], exec, s[12:13]
; %bb.25:
	v_lshl_add_u32 v23, v22, 2, v0
	ds_read_b32 v23, v23 offset:4
; %bb.26:
	s_or_saveexec_b64 s[10:11], s[10:11]
	v_mov_b32_e32 v24, v20
	s_xor_b64 exec, exec, s[10:11]
	s_cbranch_execz .LBB22_28
; %bb.27:
	s_waitcnt lgkmcnt(0)
	v_lshl_add_u32 v23, v21, 2, v0
	ds_read_b32 v24, v23 offset:4
	v_mov_b32_e32 v23, v19
.LBB22_28:
	s_or_b64 exec, exec, s[10:11]
	v_cndmask_b32_e64 v19, v19, v20, s[8:9]
	v_add_u32_e32 v20, 1, v21
	v_add_u32_e32 v25, 1, v22
	v_cndmask_b32_e64 v20, v21, v20, s[8:9]
	v_cndmask_b32_e64 v21, v25, v22, s[8:9]
	;; [unrolled: 1-line block ×4, first 2 shown]
	v_cmp_ge_i32_e64 s[0:1], v21, v7
	s_waitcnt lgkmcnt(0)
	v_cmp_gt_i32_e64 s[2:3], v24, v23
	v_cndmask_b32_e32 v10, v10, v11, vcc
	v_cmp_lt_i32_e32 vcc, v20, v8
	s_or_b64 s[0:1], s[0:1], s[2:3]
	s_and_b64 vcc, vcc, s[0:1]
	v_cndmask_b32_e32 v7, v23, v24, vcc
	v_cndmask_b32_e64 v17, v17, v18, s[6:7]
	v_cndmask_b32_e64 v15, v15, v16, s[4:5]
	; wave barrier
	ds_write2_b32 v5, v10, v12 offset1:1
	ds_write2_b32 v5, v9, v15 offset0:2 offset1:3
	ds_write2_b32 v5, v17, v19 offset0:4 offset1:5
	ds_write_b32 v5, v7 offset:24
	v_and_b32_e32 v7, 28, v6
	v_mul_u32_u24_e32 v13, 7, v7
	v_and_b32_e32 v7, 3, v6
	v_mul_u32_u24_e32 v11, 7, v7
	v_mad_u32_u24 v8, v7, 7, -14
	v_cmp_lt_u32_e32 vcc, 1, v7
	v_cndmask_b32_e32 v14, 0, v8, vcc
	v_min_u32_e32 v7, 14, v11
	v_lshl_add_u32 v9, v13, 2, v0
	v_cmp_lt_i32_e32 vcc, v14, v7
	; wave barrier
	s_and_saveexec_b64 s[0:1], vcc
	s_cbranch_execz .LBB22_32
; %bb.29:
	v_lshl_add_u32 v8, v11, 2, v9
	s_mov_b64 s[2:3], 0
.LBB22_30:                              ; =>This Inner Loop Header: Depth=1
	v_sub_u32_e32 v10, v7, v14
	v_lshrrev_b32_e32 v10, 1, v10
	v_add_u32_e32 v10, v10, v14
	v_not_b32_e32 v15, v10
	v_lshl_add_u32 v12, v10, 2, v9
	v_lshl_add_u32 v15, v15, 2, v8
	ds_read_b32 v12, v12
	ds_read_b32 v15, v15 offset:56
	v_add_u32_e32 v16, 1, v10
	s_waitcnt lgkmcnt(0)
	v_cmp_gt_i32_e32 vcc, v15, v12
	v_cndmask_b32_e32 v7, v7, v10, vcc
	v_cndmask_b32_e32 v14, v16, v14, vcc
	v_cmp_ge_i32_e32 vcc, v14, v7
	s_or_b64 s[2:3], vcc, s[2:3]
	s_andn2_b64 exec, exec, s[2:3]
	s_cbranch_execnz .LBB22_30
; %bb.31:
	s_or_b64 exec, exec, s[2:3]
.LBB22_32:
	s_or_b64 exec, exec, s[0:1]
	v_lshl_add_u32 v12, v14, 2, v9
	v_add_u32_e32 v9, v13, v11
	v_sub_u32_e32 v9, v9, v14
	v_lshl_add_u32 v16, v9, 2, v0
	ds_read_b32 v9, v12
	ds_read_b32 v10, v16 offset:56
	v_add_u32_e32 v7, 14, v13
	v_add_u32_e32 v11, v7, v11
	;; [unrolled: 1-line block ×3, first 2 shown]
	v_sub_u32_e32 v15, v11, v14
	v_cmp_lt_i32_e64 s[0:1], 13, v14
	s_waitcnt lgkmcnt(0)
	v_cmp_gt_i32_e64 s[2:3], v10, v9
	v_cmp_gt_i32_e32 vcc, v8, v15
	s_or_b64 s[0:1], s[0:1], s[2:3]
	s_and_b64 vcc, vcc, s[0:1]
	s_xor_b64 s[0:1], vcc, -1
                                        ; implicit-def: $vgpr11
	s_and_saveexec_b64 s[2:3], s[0:1]
	s_xor_b64 s[0:1], exec, s[2:3]
; %bb.33:
	ds_read_b32 v11, v12 offset:4
                                        ; implicit-def: $vgpr16
; %bb.34:
	s_or_saveexec_b64 s[0:1], s[0:1]
	v_mov_b32_e32 v12, v10
	s_xor_b64 exec, exec, s[0:1]
	s_cbranch_execz .LBB22_36
; %bb.35:
	ds_read_b32 v12, v16 offset:60
	s_waitcnt lgkmcnt(1)
	v_mov_b32_e32 v11, v9
.LBB22_36:
	s_or_b64 exec, exec, s[0:1]
	v_add_u32_e32 v13, v14, v13
	v_add_u32_e32 v16, 1, v13
	;; [unrolled: 1-line block ×3, first 2 shown]
	v_cndmask_b32_e32 v16, v16, v13, vcc
	v_cndmask_b32_e32 v15, v15, v14, vcc
	v_cmp_ge_i32_e64 s[2:3], v16, v7
	s_waitcnt lgkmcnt(0)
	v_cmp_gt_i32_e64 s[4:5], v12, v11
	v_cmp_lt_i32_e64 s[0:1], v15, v8
	s_or_b64 s[2:3], s[2:3], s[4:5]
	s_and_b64 s[0:1], s[0:1], s[2:3]
	s_xor_b64 s[2:3], s[0:1], -1
                                        ; implicit-def: $vgpr13
	s_and_saveexec_b64 s[4:5], s[2:3]
	s_xor_b64 s[2:3], exec, s[4:5]
; %bb.37:
	v_lshl_add_u32 v13, v16, 2, v0
	ds_read_b32 v13, v13 offset:4
; %bb.38:
	s_or_saveexec_b64 s[2:3], s[2:3]
	v_mov_b32_e32 v14, v12
	s_xor_b64 exec, exec, s[2:3]
	s_cbranch_execz .LBB22_40
; %bb.39:
	s_waitcnt lgkmcnt(0)
	v_lshl_add_u32 v13, v15, 2, v0
	ds_read_b32 v14, v13 offset:4
	v_mov_b32_e32 v13, v11
.LBB22_40:
	s_or_b64 exec, exec, s[2:3]
	v_add_u32_e32 v18, 1, v16
	v_add_u32_e32 v17, 1, v15
	v_cndmask_b32_e64 v18, v18, v16, s[0:1]
	v_cndmask_b32_e64 v17, v15, v17, s[0:1]
	v_cmp_ge_i32_e64 s[4:5], v18, v7
	s_waitcnt lgkmcnt(0)
	v_cmp_gt_i32_e64 s[6:7], v14, v13
	v_cmp_lt_i32_e64 s[2:3], v17, v8
	s_or_b64 s[4:5], s[4:5], s[6:7]
	s_and_b64 s[2:3], s[2:3], s[4:5]
	s_xor_b64 s[4:5], s[2:3], -1
                                        ; implicit-def: $vgpr15
	s_and_saveexec_b64 s[6:7], s[4:5]
	s_xor_b64 s[4:5], exec, s[6:7]
; %bb.41:
	v_lshl_add_u32 v15, v18, 2, v0
	ds_read_b32 v15, v15 offset:4
; %bb.42:
	s_or_saveexec_b64 s[4:5], s[4:5]
	v_mov_b32_e32 v16, v14
	s_xor_b64 exec, exec, s[4:5]
	s_cbranch_execz .LBB22_44
; %bb.43:
	s_waitcnt lgkmcnt(0)
	v_lshl_add_u32 v15, v17, 2, v0
	ds_read_b32 v16, v15 offset:4
	v_mov_b32_e32 v15, v13
.LBB22_44:
	s_or_b64 exec, exec, s[4:5]
	v_add_u32_e32 v20, 1, v18
	v_add_u32_e32 v19, 1, v17
	v_cndmask_b32_e64 v20, v20, v18, s[2:3]
	v_cndmask_b32_e64 v19, v17, v19, s[2:3]
	v_cmp_ge_i32_e64 s[6:7], v20, v7
	s_waitcnt lgkmcnt(0)
	v_cmp_gt_i32_e64 s[8:9], v16, v15
	v_cmp_lt_i32_e64 s[4:5], v19, v8
	s_or_b64 s[6:7], s[6:7], s[8:9]
	s_and_b64 s[4:5], s[4:5], s[6:7]
	s_xor_b64 s[6:7], s[4:5], -1
                                        ; implicit-def: $vgpr17
	s_and_saveexec_b64 s[8:9], s[6:7]
	s_xor_b64 s[6:7], exec, s[8:9]
; %bb.45:
	v_lshl_add_u32 v17, v20, 2, v0
	ds_read_b32 v17, v17 offset:4
; %bb.46:
	s_or_saveexec_b64 s[6:7], s[6:7]
	v_mov_b32_e32 v18, v16
	s_xor_b64 exec, exec, s[6:7]
	s_cbranch_execz .LBB22_48
; %bb.47:
	s_waitcnt lgkmcnt(0)
	v_lshl_add_u32 v17, v19, 2, v0
	ds_read_b32 v18, v17 offset:4
	v_mov_b32_e32 v17, v15
.LBB22_48:
	s_or_b64 exec, exec, s[6:7]
	v_add_u32_e32 v22, 1, v20
	v_add_u32_e32 v21, 1, v19
	v_cndmask_b32_e64 v22, v22, v20, s[4:5]
	v_cndmask_b32_e64 v21, v19, v21, s[4:5]
	v_cmp_ge_i32_e64 s[8:9], v22, v7
	s_waitcnt lgkmcnt(0)
	v_cmp_gt_i32_e64 s[10:11], v18, v17
	v_cmp_lt_i32_e64 s[6:7], v21, v8
	s_or_b64 s[8:9], s[8:9], s[10:11]
	s_and_b64 s[6:7], s[6:7], s[8:9]
	s_xor_b64 s[8:9], s[6:7], -1
                                        ; implicit-def: $vgpr19
	s_and_saveexec_b64 s[10:11], s[8:9]
	s_xor_b64 s[8:9], exec, s[10:11]
; %bb.49:
	v_lshl_add_u32 v19, v22, 2, v0
	ds_read_b32 v19, v19 offset:4
; %bb.50:
	s_or_saveexec_b64 s[8:9], s[8:9]
	v_mov_b32_e32 v20, v18
	s_xor_b64 exec, exec, s[8:9]
	s_cbranch_execz .LBB22_52
; %bb.51:
	s_waitcnt lgkmcnt(0)
	v_lshl_add_u32 v19, v21, 2, v0
	ds_read_b32 v20, v19 offset:4
	v_mov_b32_e32 v19, v17
.LBB22_52:
	s_or_b64 exec, exec, s[8:9]
	v_add_u32_e32 v24, 1, v22
	v_add_u32_e32 v23, 1, v21
	v_cndmask_b32_e64 v22, v24, v22, s[6:7]
	v_cndmask_b32_e64 v21, v21, v23, s[6:7]
	v_cmp_ge_i32_e64 s[10:11], v22, v7
	s_waitcnt lgkmcnt(0)
	v_cmp_gt_i32_e64 s[12:13], v20, v19
	v_cmp_lt_i32_e64 s[8:9], v21, v8
	s_or_b64 s[10:11], s[10:11], s[12:13]
	s_and_b64 s[8:9], s[8:9], s[10:11]
	s_xor_b64 s[10:11], s[8:9], -1
                                        ; implicit-def: $vgpr23
	s_and_saveexec_b64 s[12:13], s[10:11]
	s_xor_b64 s[10:11], exec, s[12:13]
; %bb.53:
	v_lshl_add_u32 v23, v22, 2, v0
	ds_read_b32 v23, v23 offset:4
; %bb.54:
	s_or_saveexec_b64 s[10:11], s[10:11]
	v_mov_b32_e32 v24, v20
	s_xor_b64 exec, exec, s[10:11]
	s_cbranch_execz .LBB22_56
; %bb.55:
	s_waitcnt lgkmcnt(0)
	v_lshl_add_u32 v23, v21, 2, v0
	ds_read_b32 v24, v23 offset:4
	v_mov_b32_e32 v23, v19
.LBB22_56:
	s_or_b64 exec, exec, s[10:11]
	v_cndmask_b32_e64 v19, v19, v20, s[8:9]
	v_add_u32_e32 v20, 1, v21
	v_add_u32_e32 v25, 1, v22
	v_cndmask_b32_e64 v20, v21, v20, s[8:9]
	v_cndmask_b32_e64 v21, v25, v22, s[8:9]
	;; [unrolled: 1-line block ×4, first 2 shown]
	v_cmp_ge_i32_e64 s[0:1], v21, v7
	s_waitcnt lgkmcnt(0)
	v_cmp_gt_i32_e64 s[2:3], v24, v23
	v_cndmask_b32_e32 v9, v9, v10, vcc
	v_cmp_lt_i32_e32 vcc, v20, v8
	s_or_b64 s[0:1], s[0:1], s[2:3]
	s_and_b64 vcc, vcc, s[0:1]
	v_cndmask_b32_e32 v7, v23, v24, vcc
	v_cndmask_b32_e64 v17, v17, v18, s[6:7]
	v_cndmask_b32_e64 v15, v15, v16, s[4:5]
	; wave barrier
	ds_write2_b32 v5, v9, v11 offset1:1
	ds_write2_b32 v5, v13, v15 offset0:2 offset1:3
	ds_write2_b32 v5, v17, v19 offset0:4 offset1:5
	ds_write_b32 v5, v7 offset:24
	v_and_b32_e32 v7, 24, v6
	v_mul_u32_u24_e32 v13, 7, v7
	v_and_b32_e32 v7, 7, v6
	v_not_b32_e32 v8, 27
	v_mul_u32_u24_e32 v11, 7, v7
	v_mad_u32_u24 v8, v7, 7, v8
	v_cmp_lt_u32_e32 vcc, 3, v7
	v_cndmask_b32_e32 v14, 0, v8, vcc
	v_min_u32_e32 v7, 28, v11
	v_lshl_add_u32 v9, v13, 2, v0
	v_cmp_lt_i32_e32 vcc, v14, v7
	; wave barrier
	s_and_saveexec_b64 s[0:1], vcc
	s_cbranch_execz .LBB22_60
; %bb.57:
	v_lshl_add_u32 v8, v11, 2, v9
	s_mov_b64 s[2:3], 0
.LBB22_58:                              ; =>This Inner Loop Header: Depth=1
	v_sub_u32_e32 v10, v7, v14
	v_lshrrev_b32_e32 v10, 1, v10
	v_add_u32_e32 v10, v10, v14
	v_not_b32_e32 v15, v10
	v_lshl_add_u32 v12, v10, 2, v9
	v_lshl_add_u32 v15, v15, 2, v8
	ds_read_b32 v12, v12
	ds_read_b32 v15, v15 offset:112
	v_add_u32_e32 v16, 1, v10
	s_waitcnt lgkmcnt(0)
	v_cmp_gt_i32_e32 vcc, v15, v12
	v_cndmask_b32_e32 v7, v7, v10, vcc
	v_cndmask_b32_e32 v14, v16, v14, vcc
	v_cmp_ge_i32_e32 vcc, v14, v7
	s_or_b64 s[2:3], vcc, s[2:3]
	s_andn2_b64 exec, exec, s[2:3]
	s_cbranch_execnz .LBB22_58
; %bb.59:
	s_or_b64 exec, exec, s[2:3]
.LBB22_60:
	s_or_b64 exec, exec, s[0:1]
	v_lshl_add_u32 v12, v14, 2, v9
	v_add_u32_e32 v9, v13, v11
	v_sub_u32_e32 v9, v9, v14
	v_lshl_add_u32 v16, v9, 2, v0
	ds_read_b32 v9, v12
	ds_read_b32 v10, v16 offset:112
	v_add_u32_e32 v7, 28, v13
	v_add_u32_e32 v11, v7, v11
	;; [unrolled: 1-line block ×3, first 2 shown]
	v_sub_u32_e32 v15, v11, v14
	v_cmp_lt_i32_e64 s[0:1], 27, v14
	s_waitcnt lgkmcnt(0)
	v_cmp_gt_i32_e64 s[2:3], v10, v9
	v_cmp_gt_i32_e32 vcc, v8, v15
	s_or_b64 s[0:1], s[0:1], s[2:3]
	s_and_b64 vcc, vcc, s[0:1]
	s_xor_b64 s[0:1], vcc, -1
                                        ; implicit-def: $vgpr11
	s_and_saveexec_b64 s[2:3], s[0:1]
	s_xor_b64 s[0:1], exec, s[2:3]
; %bb.61:
	ds_read_b32 v11, v12 offset:4
                                        ; implicit-def: $vgpr16
; %bb.62:
	s_or_saveexec_b64 s[0:1], s[0:1]
	v_mov_b32_e32 v12, v10
	s_xor_b64 exec, exec, s[0:1]
	s_cbranch_execz .LBB22_64
; %bb.63:
	ds_read_b32 v12, v16 offset:116
	s_waitcnt lgkmcnt(1)
	v_mov_b32_e32 v11, v9
.LBB22_64:
	s_or_b64 exec, exec, s[0:1]
	v_add_u32_e32 v13, v14, v13
	v_add_u32_e32 v16, 1, v13
	;; [unrolled: 1-line block ×3, first 2 shown]
	v_cndmask_b32_e32 v16, v16, v13, vcc
	v_cndmask_b32_e32 v15, v15, v14, vcc
	v_cmp_ge_i32_e64 s[2:3], v16, v7
	s_waitcnt lgkmcnt(0)
	v_cmp_gt_i32_e64 s[4:5], v12, v11
	v_cmp_lt_i32_e64 s[0:1], v15, v8
	s_or_b64 s[2:3], s[2:3], s[4:5]
	s_and_b64 s[0:1], s[0:1], s[2:3]
	s_xor_b64 s[2:3], s[0:1], -1
                                        ; implicit-def: $vgpr13
	s_and_saveexec_b64 s[4:5], s[2:3]
	s_xor_b64 s[2:3], exec, s[4:5]
; %bb.65:
	v_lshl_add_u32 v13, v16, 2, v0
	ds_read_b32 v13, v13 offset:4
; %bb.66:
	s_or_saveexec_b64 s[2:3], s[2:3]
	v_mov_b32_e32 v14, v12
	s_xor_b64 exec, exec, s[2:3]
	s_cbranch_execz .LBB22_68
; %bb.67:
	s_waitcnt lgkmcnt(0)
	v_lshl_add_u32 v13, v15, 2, v0
	ds_read_b32 v14, v13 offset:4
	v_mov_b32_e32 v13, v11
.LBB22_68:
	s_or_b64 exec, exec, s[2:3]
	v_add_u32_e32 v18, 1, v16
	v_add_u32_e32 v17, 1, v15
	v_cndmask_b32_e64 v18, v18, v16, s[0:1]
	v_cndmask_b32_e64 v17, v15, v17, s[0:1]
	v_cmp_ge_i32_e64 s[4:5], v18, v7
	s_waitcnt lgkmcnt(0)
	v_cmp_gt_i32_e64 s[6:7], v14, v13
	v_cmp_lt_i32_e64 s[2:3], v17, v8
	s_or_b64 s[4:5], s[4:5], s[6:7]
	s_and_b64 s[2:3], s[2:3], s[4:5]
	s_xor_b64 s[4:5], s[2:3], -1
                                        ; implicit-def: $vgpr15
	s_and_saveexec_b64 s[6:7], s[4:5]
	s_xor_b64 s[4:5], exec, s[6:7]
; %bb.69:
	v_lshl_add_u32 v15, v18, 2, v0
	ds_read_b32 v15, v15 offset:4
; %bb.70:
	s_or_saveexec_b64 s[4:5], s[4:5]
	v_mov_b32_e32 v16, v14
	s_xor_b64 exec, exec, s[4:5]
	s_cbranch_execz .LBB22_72
; %bb.71:
	s_waitcnt lgkmcnt(0)
	v_lshl_add_u32 v15, v17, 2, v0
	ds_read_b32 v16, v15 offset:4
	v_mov_b32_e32 v15, v13
.LBB22_72:
	s_or_b64 exec, exec, s[4:5]
	v_add_u32_e32 v20, 1, v18
	v_add_u32_e32 v19, 1, v17
	v_cndmask_b32_e64 v20, v20, v18, s[2:3]
	v_cndmask_b32_e64 v19, v17, v19, s[2:3]
	v_cmp_ge_i32_e64 s[6:7], v20, v7
	s_waitcnt lgkmcnt(0)
	v_cmp_gt_i32_e64 s[8:9], v16, v15
	v_cmp_lt_i32_e64 s[4:5], v19, v8
	s_or_b64 s[6:7], s[6:7], s[8:9]
	s_and_b64 s[4:5], s[4:5], s[6:7]
	s_xor_b64 s[6:7], s[4:5], -1
                                        ; implicit-def: $vgpr17
	s_and_saveexec_b64 s[8:9], s[6:7]
	s_xor_b64 s[6:7], exec, s[8:9]
; %bb.73:
	v_lshl_add_u32 v17, v20, 2, v0
	ds_read_b32 v17, v17 offset:4
; %bb.74:
	s_or_saveexec_b64 s[6:7], s[6:7]
	v_mov_b32_e32 v18, v16
	s_xor_b64 exec, exec, s[6:7]
	s_cbranch_execz .LBB22_76
; %bb.75:
	s_waitcnt lgkmcnt(0)
	v_lshl_add_u32 v17, v19, 2, v0
	ds_read_b32 v18, v17 offset:4
	v_mov_b32_e32 v17, v15
.LBB22_76:
	s_or_b64 exec, exec, s[6:7]
	v_add_u32_e32 v22, 1, v20
	v_add_u32_e32 v21, 1, v19
	v_cndmask_b32_e64 v22, v22, v20, s[4:5]
	v_cndmask_b32_e64 v21, v19, v21, s[4:5]
	v_cmp_ge_i32_e64 s[8:9], v22, v7
	s_waitcnt lgkmcnt(0)
	v_cmp_gt_i32_e64 s[10:11], v18, v17
	v_cmp_lt_i32_e64 s[6:7], v21, v8
	s_or_b64 s[8:9], s[8:9], s[10:11]
	s_and_b64 s[6:7], s[6:7], s[8:9]
	s_xor_b64 s[8:9], s[6:7], -1
                                        ; implicit-def: $vgpr19
	s_and_saveexec_b64 s[10:11], s[8:9]
	s_xor_b64 s[8:9], exec, s[10:11]
; %bb.77:
	v_lshl_add_u32 v19, v22, 2, v0
	ds_read_b32 v19, v19 offset:4
; %bb.78:
	s_or_saveexec_b64 s[8:9], s[8:9]
	v_mov_b32_e32 v20, v18
	s_xor_b64 exec, exec, s[8:9]
	s_cbranch_execz .LBB22_80
; %bb.79:
	s_waitcnt lgkmcnt(0)
	v_lshl_add_u32 v19, v21, 2, v0
	ds_read_b32 v20, v19 offset:4
	v_mov_b32_e32 v19, v17
.LBB22_80:
	s_or_b64 exec, exec, s[8:9]
	v_add_u32_e32 v24, 1, v22
	v_add_u32_e32 v23, 1, v21
	v_cndmask_b32_e64 v22, v24, v22, s[6:7]
	v_cndmask_b32_e64 v21, v21, v23, s[6:7]
	v_cmp_ge_i32_e64 s[10:11], v22, v7
	s_waitcnt lgkmcnt(0)
	v_cmp_gt_i32_e64 s[12:13], v20, v19
	v_cmp_lt_i32_e64 s[8:9], v21, v8
	s_or_b64 s[10:11], s[10:11], s[12:13]
	s_and_b64 s[8:9], s[8:9], s[10:11]
	s_xor_b64 s[10:11], s[8:9], -1
                                        ; implicit-def: $vgpr23
	s_and_saveexec_b64 s[12:13], s[10:11]
	s_xor_b64 s[10:11], exec, s[12:13]
; %bb.81:
	v_lshl_add_u32 v23, v22, 2, v0
	ds_read_b32 v23, v23 offset:4
; %bb.82:
	s_or_saveexec_b64 s[10:11], s[10:11]
	v_mov_b32_e32 v24, v20
	s_xor_b64 exec, exec, s[10:11]
	s_cbranch_execz .LBB22_84
; %bb.83:
	s_waitcnt lgkmcnt(0)
	v_lshl_add_u32 v23, v21, 2, v0
	ds_read_b32 v24, v23 offset:4
	v_mov_b32_e32 v23, v19
.LBB22_84:
	s_or_b64 exec, exec, s[10:11]
	v_cndmask_b32_e64 v19, v19, v20, s[8:9]
	v_add_u32_e32 v20, 1, v21
	v_add_u32_e32 v25, 1, v22
	v_cndmask_b32_e64 v20, v21, v20, s[8:9]
	v_cndmask_b32_e64 v21, v25, v22, s[8:9]
	;; [unrolled: 1-line block ×4, first 2 shown]
	v_cmp_ge_i32_e64 s[0:1], v21, v7
	s_waitcnt lgkmcnt(0)
	v_cmp_gt_i32_e64 s[2:3], v24, v23
	v_cndmask_b32_e32 v9, v9, v10, vcc
	v_cmp_lt_i32_e32 vcc, v20, v8
	s_or_b64 s[0:1], s[0:1], s[2:3]
	s_and_b64 vcc, vcc, s[0:1]
	v_cndmask_b32_e32 v7, v23, v24, vcc
	v_cndmask_b32_e64 v17, v17, v18, s[6:7]
	v_cndmask_b32_e64 v15, v15, v16, s[4:5]
	; wave barrier
	ds_write2_b32 v5, v9, v11 offset1:1
	ds_write2_b32 v5, v13, v15 offset0:2 offset1:3
	ds_write2_b32 v5, v17, v19 offset0:4 offset1:5
	ds_write_b32 v5, v7 offset:24
	v_and_b32_e32 v7, 16, v6
	v_mul_u32_u24_e32 v12, 7, v7
	v_and_b32_e32 v6, 15, v6
	v_not_b32_e32 v7, 55
	v_mul_u32_u24_e32 v10, 7, v6
	v_mad_u32_u24 v7, v6, 7, v7
	v_cmp_lt_u32_e32 vcc, 7, v6
	v_cndmask_b32_e32 v13, 0, v7, vcc
	v_min_u32_e32 v6, 56, v10
	v_lshl_add_u32 v8, v12, 2, v0
	v_cmp_lt_i32_e32 vcc, v13, v6
	; wave barrier
	s_and_saveexec_b64 s[0:1], vcc
	s_cbranch_execz .LBB22_88
; %bb.85:
	v_lshl_add_u32 v7, v10, 2, v8
	s_mov_b64 s[2:3], 0
.LBB22_86:                              ; =>This Inner Loop Header: Depth=1
	v_sub_u32_e32 v9, v6, v13
	v_lshrrev_b32_e32 v9, 1, v9
	v_add_u32_e32 v9, v9, v13
	v_not_b32_e32 v14, v9
	v_lshl_add_u32 v11, v9, 2, v8
	v_lshl_add_u32 v14, v14, 2, v7
	ds_read_b32 v11, v11
	ds_read_b32 v14, v14 offset:224
	v_add_u32_e32 v15, 1, v9
	s_waitcnt lgkmcnt(0)
	v_cmp_gt_i32_e32 vcc, v14, v11
	v_cndmask_b32_e32 v6, v6, v9, vcc
	v_cndmask_b32_e32 v13, v15, v13, vcc
	v_cmp_ge_i32_e32 vcc, v13, v6
	s_or_b64 s[2:3], vcc, s[2:3]
	s_andn2_b64 exec, exec, s[2:3]
	s_cbranch_execnz .LBB22_86
; %bb.87:
	s_or_b64 exec, exec, s[2:3]
.LBB22_88:
	s_or_b64 exec, exec, s[0:1]
	v_lshl_add_u32 v11, v13, 2, v8
	v_add_u32_e32 v8, v12, v10
	v_sub_u32_e32 v8, v8, v13
	v_lshl_add_u32 v15, v8, 2, v0
	ds_read_b32 v8, v11
	ds_read_b32 v9, v15 offset:224
	v_add_u32_e32 v6, 56, v12
	v_add_u32_e32 v10, v6, v10
	;; [unrolled: 1-line block ×3, first 2 shown]
	v_sub_u32_e32 v14, v10, v13
	v_cmp_lt_i32_e64 s[0:1], 55, v13
	s_waitcnt lgkmcnt(0)
	v_cmp_gt_i32_e64 s[2:3], v9, v8
	v_cmp_gt_i32_e32 vcc, v7, v14
	s_or_b64 s[0:1], s[0:1], s[2:3]
	s_and_b64 vcc, vcc, s[0:1]
	s_xor_b64 s[0:1], vcc, -1
                                        ; implicit-def: $vgpr10
	s_and_saveexec_b64 s[2:3], s[0:1]
	s_xor_b64 s[0:1], exec, s[2:3]
; %bb.89:
	ds_read_b32 v10, v11 offset:4
                                        ; implicit-def: $vgpr15
; %bb.90:
	s_or_saveexec_b64 s[0:1], s[0:1]
	v_mov_b32_e32 v11, v9
	s_xor_b64 exec, exec, s[0:1]
	s_cbranch_execz .LBB22_92
; %bb.91:
	ds_read_b32 v11, v15 offset:228
	s_waitcnt lgkmcnt(1)
	v_mov_b32_e32 v10, v8
.LBB22_92:
	s_or_b64 exec, exec, s[0:1]
	v_add_u32_e32 v12, v13, v12
	v_add_u32_e32 v15, 1, v12
	;; [unrolled: 1-line block ×3, first 2 shown]
	v_cndmask_b32_e32 v15, v15, v12, vcc
	v_cndmask_b32_e32 v14, v14, v13, vcc
	v_cmp_ge_i32_e64 s[2:3], v15, v6
	s_waitcnt lgkmcnt(0)
	v_cmp_gt_i32_e64 s[4:5], v11, v10
	v_cmp_lt_i32_e64 s[0:1], v14, v7
	s_or_b64 s[2:3], s[2:3], s[4:5]
	s_and_b64 s[0:1], s[0:1], s[2:3]
	s_xor_b64 s[2:3], s[0:1], -1
                                        ; implicit-def: $vgpr12
	s_and_saveexec_b64 s[4:5], s[2:3]
	s_xor_b64 s[2:3], exec, s[4:5]
; %bb.93:
	v_lshl_add_u32 v12, v15, 2, v0
	ds_read_b32 v12, v12 offset:4
; %bb.94:
	s_or_saveexec_b64 s[2:3], s[2:3]
	v_mov_b32_e32 v13, v11
	s_xor_b64 exec, exec, s[2:3]
	s_cbranch_execz .LBB22_96
; %bb.95:
	s_waitcnt lgkmcnt(0)
	v_lshl_add_u32 v12, v14, 2, v0
	ds_read_b32 v13, v12 offset:4
	v_mov_b32_e32 v12, v10
.LBB22_96:
	s_or_b64 exec, exec, s[2:3]
	v_add_u32_e32 v17, 1, v15
	v_add_u32_e32 v16, 1, v14
	v_cndmask_b32_e64 v17, v17, v15, s[0:1]
	v_cndmask_b32_e64 v16, v14, v16, s[0:1]
	v_cmp_ge_i32_e64 s[4:5], v17, v6
	s_waitcnt lgkmcnt(0)
	v_cmp_gt_i32_e64 s[6:7], v13, v12
	v_cmp_lt_i32_e64 s[2:3], v16, v7
	s_or_b64 s[4:5], s[4:5], s[6:7]
	s_and_b64 s[2:3], s[2:3], s[4:5]
	s_xor_b64 s[4:5], s[2:3], -1
                                        ; implicit-def: $vgpr14
	s_and_saveexec_b64 s[6:7], s[4:5]
	s_xor_b64 s[4:5], exec, s[6:7]
; %bb.97:
	v_lshl_add_u32 v14, v17, 2, v0
	ds_read_b32 v14, v14 offset:4
; %bb.98:
	s_or_saveexec_b64 s[4:5], s[4:5]
	v_mov_b32_e32 v15, v13
	s_xor_b64 exec, exec, s[4:5]
	s_cbranch_execz .LBB22_100
; %bb.99:
	s_waitcnt lgkmcnt(0)
	v_lshl_add_u32 v14, v16, 2, v0
	ds_read_b32 v15, v14 offset:4
	v_mov_b32_e32 v14, v12
.LBB22_100:
	s_or_b64 exec, exec, s[4:5]
	v_add_u32_e32 v19, 1, v17
	v_add_u32_e32 v18, 1, v16
	v_cndmask_b32_e64 v19, v19, v17, s[2:3]
	v_cndmask_b32_e64 v18, v16, v18, s[2:3]
	v_cmp_ge_i32_e64 s[6:7], v19, v6
	s_waitcnt lgkmcnt(0)
	v_cmp_gt_i32_e64 s[8:9], v15, v14
	v_cmp_lt_i32_e64 s[4:5], v18, v7
	s_or_b64 s[6:7], s[6:7], s[8:9]
	s_and_b64 s[4:5], s[4:5], s[6:7]
	s_xor_b64 s[6:7], s[4:5], -1
                                        ; implicit-def: $vgpr16
	s_and_saveexec_b64 s[8:9], s[6:7]
	s_xor_b64 s[6:7], exec, s[8:9]
; %bb.101:
	v_lshl_add_u32 v16, v19, 2, v0
	ds_read_b32 v16, v16 offset:4
; %bb.102:
	s_or_saveexec_b64 s[6:7], s[6:7]
	v_mov_b32_e32 v17, v15
	s_xor_b64 exec, exec, s[6:7]
	s_cbranch_execz .LBB22_104
; %bb.103:
	s_waitcnt lgkmcnt(0)
	v_lshl_add_u32 v16, v18, 2, v0
	ds_read_b32 v17, v16 offset:4
	v_mov_b32_e32 v16, v14
.LBB22_104:
	s_or_b64 exec, exec, s[6:7]
	v_add_u32_e32 v21, 1, v19
	v_add_u32_e32 v20, 1, v18
	v_cndmask_b32_e64 v21, v21, v19, s[4:5]
	v_cndmask_b32_e64 v20, v18, v20, s[4:5]
	v_cmp_ge_i32_e64 s[8:9], v21, v6
	s_waitcnt lgkmcnt(0)
	v_cmp_gt_i32_e64 s[10:11], v17, v16
	v_cmp_lt_i32_e64 s[6:7], v20, v7
	s_or_b64 s[8:9], s[8:9], s[10:11]
	s_and_b64 s[6:7], s[6:7], s[8:9]
	s_xor_b64 s[8:9], s[6:7], -1
                                        ; implicit-def: $vgpr18
	s_and_saveexec_b64 s[10:11], s[8:9]
	s_xor_b64 s[8:9], exec, s[10:11]
; %bb.105:
	v_lshl_add_u32 v18, v21, 2, v0
	ds_read_b32 v18, v18 offset:4
; %bb.106:
	s_or_saveexec_b64 s[8:9], s[8:9]
	v_mov_b32_e32 v19, v17
	s_xor_b64 exec, exec, s[8:9]
	s_cbranch_execz .LBB22_108
; %bb.107:
	s_waitcnt lgkmcnt(0)
	v_lshl_add_u32 v18, v20, 2, v0
	ds_read_b32 v19, v18 offset:4
	v_mov_b32_e32 v18, v16
.LBB22_108:
	s_or_b64 exec, exec, s[8:9]
	v_add_u32_e32 v23, 1, v21
	v_add_u32_e32 v22, 1, v20
	v_cndmask_b32_e64 v21, v23, v21, s[6:7]
	v_cndmask_b32_e64 v20, v20, v22, s[6:7]
	v_cmp_ge_i32_e64 s[10:11], v21, v6
	s_waitcnt lgkmcnt(0)
	v_cmp_gt_i32_e64 s[12:13], v19, v18
	v_cmp_lt_i32_e64 s[8:9], v20, v7
	s_or_b64 s[10:11], s[10:11], s[12:13]
	s_and_b64 s[8:9], s[8:9], s[10:11]
	s_xor_b64 s[10:11], s[8:9], -1
                                        ; implicit-def: $vgpr22
	s_and_saveexec_b64 s[12:13], s[10:11]
	s_xor_b64 s[10:11], exec, s[12:13]
; %bb.109:
	v_lshl_add_u32 v22, v21, 2, v0
	ds_read_b32 v22, v22 offset:4
; %bb.110:
	s_or_saveexec_b64 s[10:11], s[10:11]
	v_mov_b32_e32 v23, v19
	s_xor_b64 exec, exec, s[10:11]
	s_cbranch_execz .LBB22_112
; %bb.111:
	s_waitcnt lgkmcnt(0)
	v_lshl_add_u32 v22, v20, 2, v0
	ds_read_b32 v23, v22 offset:4
	v_mov_b32_e32 v22, v18
.LBB22_112:
	s_or_b64 exec, exec, s[10:11]
	v_cndmask_b32_e64 v18, v18, v19, s[8:9]
	v_add_u32_e32 v19, 1, v20
	v_add_u32_e32 v24, 1, v21
	v_cndmask_b32_e64 v19, v20, v19, s[8:9]
	v_cndmask_b32_e64 v20, v24, v21, s[8:9]
	;; [unrolled: 1-line block ×4, first 2 shown]
	v_cmp_ge_i32_e64 s[0:1], v20, v6
	s_waitcnt lgkmcnt(0)
	v_cmp_gt_i32_e64 s[2:3], v23, v22
	v_cndmask_b32_e32 v8, v8, v9, vcc
	v_cmp_lt_i32_e32 vcc, v19, v7
	s_or_b64 s[0:1], s[0:1], s[2:3]
	s_and_b64 vcc, vcc, s[0:1]
	v_cndmask_b32_e32 v6, v22, v23, vcc
	v_cndmask_b32_e64 v16, v16, v17, s[6:7]
	v_cndmask_b32_e64 v14, v14, v15, s[4:5]
	; wave barrier
	ds_write2_b32 v5, v8, v10 offset1:1
	ds_write2_b32 v5, v12, v14 offset0:2 offset1:3
	ds_write2_b32 v5, v16, v18 offset0:4 offset1:5
	ds_write_b32 v5, v6 offset:24
	v_add_u32_e32 v6, 0xffffff90, v2
	v_cmp_lt_u32_e32 vcc, 15, v1
	v_cndmask_b32_e32 v1, 0, v6, vcc
	v_min_u32_e32 v6, 0x70, v2
	v_cmp_lt_u32_e32 vcc, v1, v6
	; wave barrier
	s_and_saveexec_b64 s[0:1], vcc
	s_cbranch_execz .LBB22_116
; %bb.113:
	s_mov_b64 s[2:3], 0
.LBB22_114:                             ; =>This Inner Loop Header: Depth=1
	v_sub_u32_e32 v7, v6, v1
	v_lshrrev_b32_e32 v7, 1, v7
	v_add_u32_e32 v7, v7, v1
	v_not_b32_e32 v9, v7
	v_lshl_add_u32 v8, v7, 2, v0
	v_lshl_add_u32 v9, v9, 2, v5
	ds_read_b32 v8, v8
	ds_read_b32 v9, v9 offset:448
	v_add_u32_e32 v10, 1, v7
	s_waitcnt lgkmcnt(0)
	v_cmp_gt_i32_e32 vcc, v9, v8
	v_cndmask_b32_e32 v6, v6, v7, vcc
	v_cndmask_b32_e32 v1, v10, v1, vcc
	v_cmp_ge_i32_e32 vcc, v1, v6
	s_or_b64 s[2:3], vcc, s[2:3]
	s_andn2_b64 exec, exec, s[2:3]
	s_cbranch_execnz .LBB22_114
; %bb.115:
	s_or_b64 exec, exec, s[2:3]
.LBB22_116:
	s_or_b64 exec, exec, s[0:1]
	v_sub_u32_e32 v2, v2, v1
	v_lshl_add_u32 v7, v1, 2, v0
	v_add_u32_e32 v8, 0x70, v2
	v_lshl_add_u32 v9, v2, 2, v0
	ds_read_b32 v2, v7
	ds_read_b32 v5, v9 offset:448
	s_movk_i32 s0, 0xe0
	v_cmp_gt_i32_e32 vcc, s0, v8
	s_movk_i32 s0, 0x6f
	v_cmp_lt_i32_e64 s[0:1], s0, v1
	s_waitcnt lgkmcnt(0)
	v_cmp_gt_i32_e64 s[2:3], v5, v2
	s_or_b64 s[0:1], s[0:1], s[2:3]
	s_and_b64 vcc, vcc, s[0:1]
	s_xor_b64 s[0:1], vcc, -1
                                        ; implicit-def: $vgpr6
	s_and_saveexec_b64 s[2:3], s[0:1]
	s_xor_b64 s[0:1], exec, s[2:3]
; %bb.117:
	ds_read_b32 v6, v7 offset:4
                                        ; implicit-def: $vgpr9
; %bb.118:
	s_or_saveexec_b64 s[0:1], s[0:1]
	v_mov_b32_e32 v7, v5
	s_xor_b64 exec, exec, s[0:1]
	s_cbranch_execz .LBB22_120
; %bb.119:
	ds_read_b32 v7, v9 offset:452
	s_waitcnt lgkmcnt(1)
	v_mov_b32_e32 v6, v2
.LBB22_120:
	s_or_b64 exec, exec, s[0:1]
	v_add_u32_e32 v11, 1, v1
	v_add_u32_e32 v9, 1, v8
	v_cndmask_b32_e32 v1, v11, v1, vcc
	s_movk_i32 s2, 0x6f
	v_cndmask_b32_e32 v10, v8, v9, vcc
	s_movk_i32 s0, 0xe0
	v_cmp_lt_i32_e64 s[2:3], s2, v1
	s_waitcnt lgkmcnt(0)
	v_cmp_gt_i32_e64 s[4:5], v7, v6
	v_cmp_gt_i32_e64 s[0:1], s0, v10
	s_or_b64 s[2:3], s[2:3], s[4:5]
	s_and_b64 s[0:1], s[0:1], s[2:3]
	s_xor_b64 s[2:3], s[0:1], -1
                                        ; implicit-def: $vgpr8
	s_and_saveexec_b64 s[4:5], s[2:3]
	s_xor_b64 s[2:3], exec, s[4:5]
; %bb.121:
	v_lshl_add_u32 v8, v1, 2, v0
	ds_read_b32 v8, v8 offset:4
; %bb.122:
	s_or_saveexec_b64 s[2:3], s[2:3]
	v_mov_b32_e32 v9, v7
	s_xor_b64 exec, exec, s[2:3]
	s_cbranch_execz .LBB22_124
; %bb.123:
	s_waitcnt lgkmcnt(0)
	v_lshl_add_u32 v8, v10, 2, v0
	ds_read_b32 v9, v8 offset:4
	v_mov_b32_e32 v8, v6
.LBB22_124:
	s_or_b64 exec, exec, s[2:3]
	v_add_u32_e32 v13, 1, v1
	v_add_u32_e32 v11, 1, v10
	v_cndmask_b32_e64 v1, v13, v1, s[0:1]
	s_movk_i32 s4, 0x6f
	v_cndmask_b32_e64 v12, v10, v11, s[0:1]
	s_movk_i32 s2, 0xe0
	v_cmp_lt_i32_e64 s[4:5], s4, v1
	s_waitcnt lgkmcnt(0)
	v_cmp_gt_i32_e64 s[6:7], v9, v8
	v_cmp_gt_i32_e64 s[2:3], s2, v12
	s_or_b64 s[4:5], s[4:5], s[6:7]
	s_and_b64 s[2:3], s[2:3], s[4:5]
	s_xor_b64 s[4:5], s[2:3], -1
                                        ; implicit-def: $vgpr10
	s_and_saveexec_b64 s[6:7], s[4:5]
	s_xor_b64 s[4:5], exec, s[6:7]
; %bb.125:
	v_lshl_add_u32 v10, v1, 2, v0
	ds_read_b32 v10, v10 offset:4
; %bb.126:
	s_or_saveexec_b64 s[4:5], s[4:5]
	v_mov_b32_e32 v11, v9
	s_xor_b64 exec, exec, s[4:5]
	s_cbranch_execz .LBB22_128
; %bb.127:
	s_waitcnt lgkmcnt(0)
	v_lshl_add_u32 v10, v12, 2, v0
	ds_read_b32 v11, v10 offset:4
	v_mov_b32_e32 v10, v8
.LBB22_128:
	s_or_b64 exec, exec, s[4:5]
	v_add_u32_e32 v15, 1, v1
	v_add_u32_e32 v13, 1, v12
	v_cndmask_b32_e64 v1, v15, v1, s[2:3]
	s_movk_i32 s6, 0x6f
	v_cndmask_b32_e64 v14, v12, v13, s[2:3]
	s_movk_i32 s4, 0xe0
	v_cmp_lt_i32_e64 s[6:7], s6, v1
	s_waitcnt lgkmcnt(0)
	v_cmp_gt_i32_e64 s[8:9], v11, v10
	v_cmp_gt_i32_e64 s[4:5], s4, v14
	s_or_b64 s[6:7], s[6:7], s[8:9]
	s_and_b64 s[4:5], s[4:5], s[6:7]
	s_xor_b64 s[6:7], s[4:5], -1
                                        ; implicit-def: $vgpr12
	s_and_saveexec_b64 s[8:9], s[6:7]
	s_xor_b64 s[6:7], exec, s[8:9]
; %bb.129:
	v_lshl_add_u32 v12, v1, 2, v0
	ds_read_b32 v12, v12 offset:4
; %bb.130:
	s_or_saveexec_b64 s[6:7], s[6:7]
	v_mov_b32_e32 v13, v11
	s_xor_b64 exec, exec, s[6:7]
	s_cbranch_execz .LBB22_132
; %bb.131:
	s_waitcnt lgkmcnt(0)
	v_lshl_add_u32 v12, v14, 2, v0
	ds_read_b32 v13, v12 offset:4
	v_mov_b32_e32 v12, v10
.LBB22_132:
	s_or_b64 exec, exec, s[6:7]
	v_add_u32_e32 v17, 1, v1
	v_add_u32_e32 v15, 1, v14
	v_cndmask_b32_e64 v1, v17, v1, s[4:5]
	s_movk_i32 s8, 0x6f
	v_cndmask_b32_e64 v16, v14, v15, s[4:5]
	s_movk_i32 s6, 0xe0
	v_cmp_lt_i32_e64 s[8:9], s8, v1
	s_waitcnt lgkmcnt(0)
	v_cmp_gt_i32_e64 s[10:11], v13, v12
	v_cmp_gt_i32_e64 s[6:7], s6, v16
	s_or_b64 s[8:9], s[8:9], s[10:11]
	s_and_b64 s[6:7], s[6:7], s[8:9]
	s_xor_b64 s[8:9], s[6:7], -1
                                        ; implicit-def: $vgpr15
	s_and_saveexec_b64 s[10:11], s[8:9]
	s_xor_b64 s[8:9], exec, s[10:11]
; %bb.133:
	v_lshl_add_u32 v14, v1, 2, v0
	ds_read_b32 v15, v14 offset:4
; %bb.134:
	s_or_saveexec_b64 s[8:9], s[8:9]
	v_mov_b32_e32 v14, v13
	s_xor_b64 exec, exec, s[8:9]
	s_cbranch_execz .LBB22_136
; %bb.135:
	v_lshl_add_u32 v14, v16, 2, v0
	ds_read_b32 v14, v14 offset:4
	s_waitcnt lgkmcnt(1)
	v_mov_b32_e32 v15, v12
.LBB22_136:
	s_or_b64 exec, exec, s[8:9]
	v_add_u32_e32 v18, 1, v1
	v_add_u32_e32 v17, 1, v16
	v_cndmask_b32_e64 v19, v18, v1, s[6:7]
	s_movk_i32 s10, 0x70
	v_cndmask_b32_e64 v16, v16, v17, s[6:7]
	s_movk_i32 s8, 0xdf
	v_cmp_gt_i32_e64 s[10:11], s10, v19
	s_waitcnt lgkmcnt(0)
	v_cmp_le_i32_e64 s[12:13], v14, v15
	v_cmp_lt_i32_e64 s[8:9], s8, v16
	s_and_b64 s[10:11], s[10:11], s[12:13]
	s_or_b64 s[8:9], s[8:9], s[10:11]
                                        ; implicit-def: $vgpr17
                                        ; implicit-def: $vgpr18
	s_and_saveexec_b64 s[10:11], s[8:9]
	s_xor_b64 s[8:9], exec, s[10:11]
; %bb.137:
	v_lshl_add_u32 v0, v19, 2, v0
	ds_read_b32 v17, v0 offset:4
	v_add_u32_e32 v18, 1, v19
                                        ; implicit-def: $vgpr0
                                        ; implicit-def: $vgpr19
; %bb.138:
	s_or_saveexec_b64 s[8:9], s[8:9]
	v_mov_b32_e32 v1, v15
	s_xor_b64 exec, exec, s[8:9]
	s_cbranch_execz .LBB22_140
; %bb.139:
	v_lshl_add_u32 v0, v16, 2, v0
	ds_read_b32 v0, v0 offset:4
	s_waitcnt lgkmcnt(1)
	v_add_u32_e32 v17, 1, v16
	v_mov_b32_e32 v1, v14
	v_mov_b32_e32 v18, v19
	;; [unrolled: 1-line block ×4, first 2 shown]
	s_waitcnt lgkmcnt(0)
	v_mov_b32_e32 v14, v0
.LBB22_140:
	s_or_b64 exec, exec, s[8:9]
	v_cndmask_b32_e64 v9, v8, v9, s[2:3]
	v_cndmask_b32_e64 v8, v6, v7, s[0:1]
	s_movk_i32 s0, 0xe0
	v_cndmask_b32_e32 v7, v2, v5, vcc
	v_cmp_gt_i32_e32 vcc, s0, v16
	s_movk_i32 s0, 0x6f
	v_cmp_lt_i32_e64 s[0:1], s0, v18
	s_waitcnt lgkmcnt(0)
	v_cmp_gt_i32_e64 s[2:3], v14, v17
	s_or_b64 s[0:1], s[0:1], s[2:3]
	v_cndmask_b32_e64 v10, v10, v11, s[4:5]
	s_and_b64 vcc, vcc, s[0:1]
	v_cndmask_b32_e64 v0, v12, v13, s[6:7]
	v_cndmask_b32_e32 v2, v17, v14, vcc
	global_store_dwordx4 v[3:4], v[7:10], off
	global_store_dwordx3 v[3:4], v[0:2], off offset:16
	s_endpgm
	.section	.rodata,"a",@progbits
	.p2align	6, 0x0
	.amdhsa_kernel _Z14sort_keys_fullILj256ELj32ELj7ELb0EiN10test_utils7greaterEEvPT3_T4_
		.amdhsa_group_segment_fixed_size 7200
		.amdhsa_private_segment_fixed_size 0
		.amdhsa_kernarg_size 12
		.amdhsa_user_sgpr_count 6
		.amdhsa_user_sgpr_private_segment_buffer 1
		.amdhsa_user_sgpr_dispatch_ptr 0
		.amdhsa_user_sgpr_queue_ptr 0
		.amdhsa_user_sgpr_kernarg_segment_ptr 1
		.amdhsa_user_sgpr_dispatch_id 0
		.amdhsa_user_sgpr_flat_scratch_init 0
		.amdhsa_user_sgpr_private_segment_size 0
		.amdhsa_uses_dynamic_stack 0
		.amdhsa_system_sgpr_private_segment_wavefront_offset 0
		.amdhsa_system_sgpr_workgroup_id_x 1
		.amdhsa_system_sgpr_workgroup_id_y 0
		.amdhsa_system_sgpr_workgroup_id_z 0
		.amdhsa_system_sgpr_workgroup_info 0
		.amdhsa_system_vgpr_workitem_id 0
		.amdhsa_next_free_vgpr 26
		.amdhsa_next_free_sgpr 61
		.amdhsa_reserve_vcc 1
		.amdhsa_reserve_flat_scratch 0
		.amdhsa_float_round_mode_32 0
		.amdhsa_float_round_mode_16_64 0
		.amdhsa_float_denorm_mode_32 3
		.amdhsa_float_denorm_mode_16_64 3
		.amdhsa_dx10_clamp 1
		.amdhsa_ieee_mode 1
		.amdhsa_fp16_overflow 0
		.amdhsa_exception_fp_ieee_invalid_op 0
		.amdhsa_exception_fp_denorm_src 0
		.amdhsa_exception_fp_ieee_div_zero 0
		.amdhsa_exception_fp_ieee_overflow 0
		.amdhsa_exception_fp_ieee_underflow 0
		.amdhsa_exception_fp_ieee_inexact 0
		.amdhsa_exception_int_div_zero 0
	.end_amdhsa_kernel
	.section	.text._Z14sort_keys_fullILj256ELj32ELj7ELb0EiN10test_utils7greaterEEvPT3_T4_,"axG",@progbits,_Z14sort_keys_fullILj256ELj32ELj7ELb0EiN10test_utils7greaterEEvPT3_T4_,comdat
.Lfunc_end22:
	.size	_Z14sort_keys_fullILj256ELj32ELj7ELb0EiN10test_utils7greaterEEvPT3_T4_, .Lfunc_end22-_Z14sort_keys_fullILj256ELj32ELj7ELb0EiN10test_utils7greaterEEvPT3_T4_
                                        ; -- End function
	.set _Z14sort_keys_fullILj256ELj32ELj7ELb0EiN10test_utils7greaterEEvPT3_T4_.num_vgpr, 26
	.set _Z14sort_keys_fullILj256ELj32ELj7ELb0EiN10test_utils7greaterEEvPT3_T4_.num_agpr, 0
	.set _Z14sort_keys_fullILj256ELj32ELj7ELb0EiN10test_utils7greaterEEvPT3_T4_.numbered_sgpr, 14
	.set _Z14sort_keys_fullILj256ELj32ELj7ELb0EiN10test_utils7greaterEEvPT3_T4_.num_named_barrier, 0
	.set _Z14sort_keys_fullILj256ELj32ELj7ELb0EiN10test_utils7greaterEEvPT3_T4_.private_seg_size, 0
	.set _Z14sort_keys_fullILj256ELj32ELj7ELb0EiN10test_utils7greaterEEvPT3_T4_.uses_vcc, 1
	.set _Z14sort_keys_fullILj256ELj32ELj7ELb0EiN10test_utils7greaterEEvPT3_T4_.uses_flat_scratch, 0
	.set _Z14sort_keys_fullILj256ELj32ELj7ELb0EiN10test_utils7greaterEEvPT3_T4_.has_dyn_sized_stack, 0
	.set _Z14sort_keys_fullILj256ELj32ELj7ELb0EiN10test_utils7greaterEEvPT3_T4_.has_recursion, 0
	.set _Z14sort_keys_fullILj256ELj32ELj7ELb0EiN10test_utils7greaterEEvPT3_T4_.has_indirect_call, 0
	.section	.AMDGPU.csdata,"",@progbits
; Kernel info:
; codeLenInByte = 6136
; TotalNumSgprs: 18
; NumVgprs: 26
; ScratchSize: 0
; MemoryBound: 0
; FloatMode: 240
; IeeeMode: 1
; LDSByteSize: 7200 bytes/workgroup (compile time only)
; SGPRBlocks: 8
; VGPRBlocks: 6
; NumSGPRsForWavesPerEU: 65
; NumVGPRsForWavesPerEU: 26
; Occupancy: 9
; WaveLimiterHint : 0
; COMPUTE_PGM_RSRC2:SCRATCH_EN: 0
; COMPUTE_PGM_RSRC2:USER_SGPR: 6
; COMPUTE_PGM_RSRC2:TRAP_HANDLER: 0
; COMPUTE_PGM_RSRC2:TGID_X_EN: 1
; COMPUTE_PGM_RSRC2:TGID_Y_EN: 0
; COMPUTE_PGM_RSRC2:TGID_Z_EN: 0
; COMPUTE_PGM_RSRC2:TIDIG_COMP_CNT: 0
	.section	.text._Z14sort_keys_fullILj256ELj8ELj4ELb1ExN10test_utils4lessEEvPT3_T4_,"axG",@progbits,_Z14sort_keys_fullILj256ELj8ELj4ELb1ExN10test_utils4lessEEvPT3_T4_,comdat
	.protected	_Z14sort_keys_fullILj256ELj8ELj4ELb1ExN10test_utils4lessEEvPT3_T4_ ; -- Begin function _Z14sort_keys_fullILj256ELj8ELj4ELb1ExN10test_utils4lessEEvPT3_T4_
	.globl	_Z14sort_keys_fullILj256ELj8ELj4ELb1ExN10test_utils4lessEEvPT3_T4_
	.p2align	8
	.type	_Z14sort_keys_fullILj256ELj8ELj4ELb1ExN10test_utils4lessEEvPT3_T4_,@function
_Z14sort_keys_fullILj256ELj8ELj4ELb1ExN10test_utils4lessEEvPT3_T4_: ; @_Z14sort_keys_fullILj256ELj8ELj4ELb1ExN10test_utils4lessEEvPT3_T4_
; %bb.0:
	s_load_dwordx2 s[0:1], s[4:5], 0x0
	s_lshl_b32 s2, s6, 10
	s_mov_b32 s3, 0
	s_lshl_b64 s[2:3], s[2:3], 3
	v_lshlrev_b32_e32 v3, 5, v0
	s_waitcnt lgkmcnt(0)
	s_add_u32 s0, s0, s2
	s_addc_u32 s1, s1, s3
	global_load_dwordx4 v[12:15], v3, s[0:1]
	global_load_dwordx4 v[23:26], v3, s[0:1] offset:16
	v_mbcnt_lo_u32_b32 v1, -1, 0
	v_mbcnt_hi_u32_b32 v1, -1, v1
	v_lshlrev_b32_e32 v21, 2, v1
	v_and_b32_e32 v11, 24, v21
	v_and_b32_e32 v18, 28, v21
	v_or_b32_e32 v22, 4, v11
	s_movk_i32 s2, 0x108
	v_lshrrev_b32_e32 v0, 3, v0
	v_and_b32_e32 v6, 4, v21
	v_lshlrev_b32_e32 v1, 3, v18
	v_lshlrev_b32_e32 v2, 3, v11
	v_sub_u32_e32 v4, v22, v11
	v_mad_u32_u24 v20, v0, s2, v1
	v_mad_u32_u24 v1, v0, s2, v2
	v_min_i32_e32 v2, v6, v4
	v_mov_b32_e32 v5, s1
	v_add_co_u32_e32 v4, vcc, s0, v3
	v_addc_co_u32_e32 v5, vcc, 0, v5, vcc
	v_mov_b32_e32 v10, 0
	; wave barrier
	s_waitcnt vmcnt(1)
	v_cmp_lt_i64_e32 vcc, v[14:15], v[12:13]
	v_cmp_gt_i64_e64 s[0:1], v[14:15], v[12:13]
	s_waitcnt vmcnt(0)
	v_cmp_lt_i64_e64 s[2:3], v[25:26], v[23:24]
	v_cndmask_b32_e32 v3, v14, v12, vcc
	v_cndmask_b32_e64 v8, v13, v15, s[0:1]
	v_cmp_gt_i64_e64 s[4:5], v[25:26], v[23:24]
	v_cndmask_b32_e32 v9, v15, v13, vcc
	v_cndmask_b32_e32 v28, v13, v15, vcc
	;; [unrolled: 1-line block ×3, first 2 shown]
	v_cndmask_b32_e64 v7, v12, v14, s[0:1]
	v_cndmask_b32_e64 v13, v24, v26, s[2:3]
	;; [unrolled: 1-line block ×3, first 2 shown]
	v_cmp_lt_i64_e32 vcc, v[12:13], v[7:8]
	v_cmp_gt_i64_e64 s[0:1], v[12:13], v[7:8]
	v_cndmask_b32_e64 v16, v24, v26, s[4:5]
	v_cndmask_b32_e64 v15, v23, v25, s[4:5]
	;; [unrolled: 1-line block ×4, first 2 shown]
	v_cndmask_b32_e32 v19, v13, v8, vcc
	v_cndmask_b32_e64 v25, v7, v12, s[0:1]
	v_cndmask_b32_e32 v26, v12, v7, vcc
	v_cndmask_b32_e32 v23, v9, v13, vcc
	v_cndmask_b32_e32 v3, v3, v12, vcc
	v_cndmask_b32_e64 v29, v8, v13, s[0:1]
	v_cndmask_b32_e32 v30, v7, v12, vcc
	v_cndmask_b32_e32 v24, v8, v13, vcc
	v_cmp_lt_i64_e32 vcc, v[12:13], v[27:28]
	v_cmp_gt_i64_e64 s[0:1], v[7:8], v[15:16]
	v_cndmask_b32_e32 v9, v28, v24, vcc
	v_cndmask_b32_e64 v13, v14, v29, s[0:1]
	v_cndmask_b32_e32 v7, v23, v28, vcc
	v_cndmask_b32_e32 v24, v24, v28, vcc
	;; [unrolled: 1-line block ×3, first 2 shown]
	v_cndmask_b32_e64 v12, v17, v25, s[0:1]
	v_cndmask_b32_e64 v14, v26, v15, s[0:1]
	;; [unrolled: 1-line block ×5, first 2 shown]
	v_cndmask_b32_e32 v8, v27, v30, vcc
	v_cndmask_b32_e32 v3, v3, v27, vcc
	v_cmp_lt_i64_e32 vcc, v[15:16], v[23:24]
	v_cndmask_b32_e32 v24, v17, v24, vcc
	v_cndmask_b32_e32 v23, v14, v23, vcc
	;; [unrolled: 1-line block ×4, first 2 shown]
	v_cmp_lt_i32_e32 vcc, 0, v2
	ds_write2_b64 v20, v[8:9], v[15:16] offset1:1
	ds_write2_b64 v20, v[23:24], v[12:13] offset0:2 offset1:3
	; wave barrier
	s_and_saveexec_b64 s[0:1], vcc
	s_cbranch_execz .LBB23_4
; %bb.1:
	v_lshl_add_u32 v3, v6, 3, v1
	v_mov_b32_e32 v10, 0
	s_mov_b64 s[2:3], 0
.LBB23_2:                               ; =>This Inner Loop Header: Depth=1
	v_sub_u32_e32 v7, v2, v10
	v_lshrrev_b32_e32 v7, 1, v7
	v_add_u32_e32 v9, v7, v10
	v_not_b32_e32 v8, v9
	v_lshl_add_u32 v7, v9, 3, v1
	v_lshl_add_u32 v12, v8, 3, v3
	ds_read_b64 v[7:8], v7
	ds_read_b64 v[12:13], v12 offset:32
	v_add_u32_e32 v14, 1, v9
	s_waitcnt lgkmcnt(0)
	v_cmp_lt_i64_e32 vcc, v[12:13], v[7:8]
	v_cndmask_b32_e32 v2, v2, v9, vcc
	v_cndmask_b32_e32 v10, v14, v10, vcc
	v_cmp_ge_i32_e32 vcc, v10, v2
	s_or_b64 s[2:3], vcc, s[2:3]
	s_andn2_b64 exec, exec, s[2:3]
	s_cbranch_execnz .LBB23_2
; %bb.3:
	s_or_b64 exec, exec, s[2:3]
.LBB23_4:
	s_or_b64 exec, exec, s[0:1]
	v_mul_u32_u24_e32 v19, 0x108, v0
	v_add_u32_e32 v0, v11, v6
	v_lshl_add_u32 v8, v10, 3, v1
	v_sub_u32_e32 v0, v0, v10
	v_lshl_add_u32 v13, v0, 3, v19
	ds_read_b64 v[0:1], v8
	ds_read_b64 v[2:3], v13 offset:32
	v_add_u32_e32 v6, v22, v6
	v_add_u32_e32 v23, 8, v11
	v_sub_u32_e32 v12, v6, v10
	v_cmp_lt_i32_e64 s[2:3], 3, v10
	s_waitcnt lgkmcnt(0)
	v_cmp_lt_i64_e64 s[0:1], v[2:3], v[0:1]
	v_cmp_gt_i32_e32 vcc, v23, v12
	s_or_b64 s[0:1], s[2:3], s[0:1]
	s_and_b64 vcc, vcc, s[0:1]
	s_xor_b64 s[0:1], vcc, -1
                                        ; implicit-def: $vgpr6_vgpr7
	s_and_saveexec_b64 s[2:3], s[0:1]
	s_xor_b64 s[0:1], exec, s[2:3]
; %bb.5:
	ds_read_b64 v[6:7], v8 offset:8
                                        ; implicit-def: $vgpr13
; %bb.6:
	s_or_saveexec_b64 s[0:1], s[0:1]
	v_mov_b32_e32 v9, v3
	v_mov_b32_e32 v8, v2
	s_xor_b64 exec, exec, s[0:1]
	s_cbranch_execz .LBB23_8
; %bb.7:
	ds_read_b64 v[8:9], v13 offset:40
	s_waitcnt lgkmcnt(1)
	v_mov_b32_e32 v7, v1
	v_mov_b32_e32 v6, v0
.LBB23_8:
	s_or_b64 exec, exec, s[0:1]
	v_add_u32_e32 v10, v10, v11
	v_add_u32_e32 v13, 1, v10
	v_add_u32_e32 v11, 1, v12
	v_cndmask_b32_e32 v15, v13, v10, vcc
	s_waitcnt lgkmcnt(0)
	v_cmp_lt_i64_e64 s[2:3], v[8:9], v[6:7]
	v_cndmask_b32_e32 v14, v12, v11, vcc
	v_cmp_ge_i32_e64 s[4:5], v15, v22
	v_cmp_lt_i32_e64 s[0:1], v14, v23
	s_or_b64 s[2:3], s[4:5], s[2:3]
	s_and_b64 s[0:1], s[0:1], s[2:3]
	s_xor_b64 s[2:3], s[0:1], -1
                                        ; implicit-def: $vgpr10_vgpr11
	s_and_saveexec_b64 s[4:5], s[2:3]
	s_xor_b64 s[2:3], exec, s[4:5]
; %bb.9:
	v_lshl_add_u32 v10, v15, 3, v19
	ds_read_b64 v[10:11], v10 offset:8
; %bb.10:
	s_or_saveexec_b64 s[2:3], s[2:3]
	v_mov_b32_e32 v13, v9
	v_mov_b32_e32 v12, v8
	s_xor_b64 exec, exec, s[2:3]
	s_cbranch_execz .LBB23_12
; %bb.11:
	s_waitcnt lgkmcnt(0)
	v_lshl_add_u32 v10, v14, 3, v19
	ds_read_b64 v[12:13], v10 offset:8
	v_mov_b32_e32 v11, v7
	v_mov_b32_e32 v10, v6
.LBB23_12:
	s_or_b64 exec, exec, s[2:3]
	v_add_u32_e32 v17, 1, v15
	v_add_u32_e32 v16, 1, v14
	v_cndmask_b32_e64 v25, v17, v15, s[0:1]
	s_waitcnt lgkmcnt(0)
	v_cmp_lt_i64_e64 s[4:5], v[12:13], v[10:11]
	v_cndmask_b32_e64 v24, v14, v16, s[0:1]
	v_cmp_ge_i32_e64 s[6:7], v25, v22
	v_cmp_lt_i32_e64 s[2:3], v24, v23
	s_or_b64 s[4:5], s[6:7], s[4:5]
	s_and_b64 s[2:3], s[2:3], s[4:5]
	s_xor_b64 s[4:5], s[2:3], -1
                                        ; implicit-def: $vgpr14_vgpr15
	s_and_saveexec_b64 s[6:7], s[4:5]
	s_xor_b64 s[4:5], exec, s[6:7]
; %bb.13:
	v_lshl_add_u32 v14, v25, 3, v19
	ds_read_b64 v[14:15], v14 offset:8
; %bb.14:
	s_or_saveexec_b64 s[4:5], s[4:5]
	v_mov_b32_e32 v17, v13
	v_mov_b32_e32 v16, v12
	s_xor_b64 exec, exec, s[4:5]
	s_cbranch_execz .LBB23_16
; %bb.15:
	s_waitcnt lgkmcnt(0)
	v_lshl_add_u32 v14, v24, 3, v19
	ds_read_b64 v[16:17], v14 offset:8
	v_mov_b32_e32 v15, v11
	v_mov_b32_e32 v14, v10
.LBB23_16:
	s_or_b64 exec, exec, s[4:5]
	v_cndmask_b32_e64 v11, v11, v13, s[2:3]
	v_add_u32_e32 v13, 1, v25
	v_cndmask_b32_e64 v10, v10, v12, s[2:3]
	v_add_u32_e32 v12, 1, v24
	v_cndmask_b32_e64 v13, v13, v25, s[2:3]
	v_cndmask_b32_e64 v7, v7, v9, s[0:1]
	;; [unrolled: 1-line block ×3, first 2 shown]
	s_waitcnt lgkmcnt(0)
	v_cmp_lt_i64_e64 s[0:1], v[16:17], v[14:15]
	v_cndmask_b32_e64 v12, v24, v12, s[2:3]
	v_cmp_ge_i32_e64 s[2:3], v13, v22
	v_cndmask_b32_e32 v1, v1, v3, vcc
	v_cndmask_b32_e32 v0, v0, v2, vcc
	v_cmp_lt_i32_e32 vcc, v12, v23
	s_or_b64 s[0:1], s[2:3], s[0:1]
	s_and_b64 vcc, vcc, s[0:1]
	v_cndmask_b32_e32 v3, v15, v17, vcc
	v_cndmask_b32_e32 v2, v14, v16, vcc
	; wave barrier
	ds_write2_b64 v20, v[0:1], v[6:7] offset1:1
	ds_write2_b64 v20, v[10:11], v[2:3] offset0:2 offset1:3
	v_and_b32_e32 v10, 16, v21
	v_and_b32_e32 v6, 12, v21
	v_or_b32_e32 v21, 8, v10
	v_sub_u32_e32 v1, v21, v10
	v_sub_u32_e64 v11, v6, 8 clamp
	v_min_i32_e32 v1, v6, v1
	v_lshl_add_u32 v0, v10, 3, v19
	v_cmp_lt_i32_e32 vcc, v11, v1
	; wave barrier
	s_and_saveexec_b64 s[0:1], vcc
	s_cbranch_execz .LBB23_20
; %bb.17:
	v_lshl_add_u32 v2, v6, 3, v0
	s_mov_b64 s[2:3], 0
.LBB23_18:                              ; =>This Inner Loop Header: Depth=1
	v_sub_u32_e32 v3, v1, v11
	v_lshrrev_b32_e32 v3, 1, v3
	v_add_u32_e32 v3, v3, v11
	v_lshl_add_u32 v7, v3, 3, v0
	v_not_b32_e32 v8, v3
	v_lshl_add_u32 v9, v8, 3, v2
	ds_read_b64 v[7:8], v7
	ds_read_b64 v[12:13], v9 offset:64
	v_add_u32_e32 v9, 1, v3
	s_waitcnt lgkmcnt(0)
	v_cmp_lt_i64_e32 vcc, v[12:13], v[7:8]
	v_cndmask_b32_e32 v1, v1, v3, vcc
	v_cndmask_b32_e32 v11, v9, v11, vcc
	v_cmp_ge_i32_e32 vcc, v11, v1
	s_or_b64 s[2:3], vcc, s[2:3]
	s_andn2_b64 exec, exec, s[2:3]
	s_cbranch_execnz .LBB23_18
; %bb.19:
	s_or_b64 exec, exec, s[2:3]
.LBB23_20:
	s_or_b64 exec, exec, s[0:1]
	v_lshl_add_u32 v8, v11, 3, v0
	v_add_u32_e32 v0, v10, v6
	v_sub_u32_e32 v0, v0, v11
	v_lshl_add_u32 v13, v0, 3, v19
	ds_read_b64 v[0:1], v8
	ds_read_b64 v[2:3], v13 offset:64
	v_add_u32_e32 v6, v21, v6
	v_add_u32_e32 v22, 16, v10
	v_sub_u32_e32 v12, v6, v11
	v_cmp_lt_i32_e64 s[2:3], 7, v11
	s_waitcnt lgkmcnt(0)
	v_cmp_lt_i64_e64 s[0:1], v[2:3], v[0:1]
	v_cmp_gt_i32_e32 vcc, v22, v12
	s_or_b64 s[0:1], s[2:3], s[0:1]
	s_and_b64 vcc, vcc, s[0:1]
	s_xor_b64 s[0:1], vcc, -1
                                        ; implicit-def: $vgpr6_vgpr7
	s_and_saveexec_b64 s[2:3], s[0:1]
	s_xor_b64 s[0:1], exec, s[2:3]
; %bb.21:
	ds_read_b64 v[6:7], v8 offset:8
                                        ; implicit-def: $vgpr13
; %bb.22:
	s_or_saveexec_b64 s[0:1], s[0:1]
	v_mov_b32_e32 v9, v3
	v_mov_b32_e32 v8, v2
	s_xor_b64 exec, exec, s[0:1]
	s_cbranch_execz .LBB23_24
; %bb.23:
	ds_read_b64 v[8:9], v13 offset:72
	s_waitcnt lgkmcnt(1)
	v_mov_b32_e32 v7, v1
	v_mov_b32_e32 v6, v0
.LBB23_24:
	s_or_b64 exec, exec, s[0:1]
	v_add_u32_e32 v10, v11, v10
	v_add_u32_e32 v13, 1, v10
	;; [unrolled: 1-line block ×3, first 2 shown]
	v_cndmask_b32_e32 v15, v13, v10, vcc
	s_waitcnt lgkmcnt(0)
	v_cmp_lt_i64_e64 s[2:3], v[8:9], v[6:7]
	v_cndmask_b32_e32 v14, v12, v11, vcc
	v_cmp_ge_i32_e64 s[4:5], v15, v21
	v_cmp_lt_i32_e64 s[0:1], v14, v22
	s_or_b64 s[2:3], s[4:5], s[2:3]
	s_and_b64 s[0:1], s[0:1], s[2:3]
	s_xor_b64 s[2:3], s[0:1], -1
                                        ; implicit-def: $vgpr10_vgpr11
	s_and_saveexec_b64 s[4:5], s[2:3]
	s_xor_b64 s[2:3], exec, s[4:5]
; %bb.25:
	v_lshl_add_u32 v10, v15, 3, v19
	ds_read_b64 v[10:11], v10 offset:8
; %bb.26:
	s_or_saveexec_b64 s[2:3], s[2:3]
	v_mov_b32_e32 v13, v9
	v_mov_b32_e32 v12, v8
	s_xor_b64 exec, exec, s[2:3]
	s_cbranch_execz .LBB23_28
; %bb.27:
	s_waitcnt lgkmcnt(0)
	v_lshl_add_u32 v10, v14, 3, v19
	ds_read_b64 v[12:13], v10 offset:8
	v_mov_b32_e32 v11, v7
	v_mov_b32_e32 v10, v6
.LBB23_28:
	s_or_b64 exec, exec, s[2:3]
	v_add_u32_e32 v17, 1, v15
	v_add_u32_e32 v16, 1, v14
	v_cndmask_b32_e64 v24, v17, v15, s[0:1]
	s_waitcnt lgkmcnt(0)
	v_cmp_lt_i64_e64 s[4:5], v[12:13], v[10:11]
	v_cndmask_b32_e64 v23, v14, v16, s[0:1]
	v_cmp_ge_i32_e64 s[6:7], v24, v21
	v_cmp_lt_i32_e64 s[2:3], v23, v22
	s_or_b64 s[4:5], s[6:7], s[4:5]
	s_and_b64 s[2:3], s[2:3], s[4:5]
	s_xor_b64 s[4:5], s[2:3], -1
                                        ; implicit-def: $vgpr14_vgpr15
	s_and_saveexec_b64 s[6:7], s[4:5]
	s_xor_b64 s[4:5], exec, s[6:7]
; %bb.29:
	v_lshl_add_u32 v14, v24, 3, v19
	ds_read_b64 v[14:15], v14 offset:8
; %bb.30:
	s_or_saveexec_b64 s[4:5], s[4:5]
	v_mov_b32_e32 v17, v13
	v_mov_b32_e32 v16, v12
	s_xor_b64 exec, exec, s[4:5]
	s_cbranch_execz .LBB23_32
; %bb.31:
	s_waitcnt lgkmcnt(0)
	v_lshl_add_u32 v14, v23, 3, v19
	ds_read_b64 v[16:17], v14 offset:8
	v_mov_b32_e32 v15, v11
	v_mov_b32_e32 v14, v10
.LBB23_32:
	s_or_b64 exec, exec, s[4:5]
	v_cndmask_b32_e64 v11, v11, v13, s[2:3]
	v_add_u32_e32 v13, 1, v24
	v_cndmask_b32_e64 v10, v10, v12, s[2:3]
	v_add_u32_e32 v12, 1, v23
	v_cndmask_b32_e64 v13, v13, v24, s[2:3]
	v_cndmask_b32_e64 v7, v7, v9, s[0:1]
	;; [unrolled: 1-line block ×3, first 2 shown]
	s_waitcnt lgkmcnt(0)
	v_cmp_lt_i64_e64 s[0:1], v[16:17], v[14:15]
	v_cndmask_b32_e64 v12, v23, v12, s[2:3]
	v_cmp_ge_i32_e64 s[2:3], v13, v21
	v_cndmask_b32_e32 v1, v1, v3, vcc
	v_cndmask_b32_e32 v0, v0, v2, vcc
	v_cmp_lt_i32_e32 vcc, v12, v22
	s_or_b64 s[0:1], s[2:3], s[0:1]
	s_and_b64 vcc, vcc, s[0:1]
	v_cndmask_b32_e32 v3, v15, v17, vcc
	v_cndmask_b32_e32 v2, v14, v16, vcc
	; wave barrier
	ds_write2_b64 v20, v[0:1], v[6:7] offset1:1
	ds_write2_b64 v20, v[10:11], v[2:3] offset0:2 offset1:3
	v_sub_u32_e64 v0, v18, 16 clamp
	v_min_u32_e32 v1, 16, v18
	v_cmp_lt_u32_e32 vcc, v0, v1
	; wave barrier
	s_and_saveexec_b64 s[0:1], vcc
	s_cbranch_execz .LBB23_36
; %bb.33:
	s_mov_b64 s[2:3], 0
.LBB23_34:                              ; =>This Inner Loop Header: Depth=1
	v_sub_u32_e32 v2, v1, v0
	v_lshrrev_b32_e32 v2, 1, v2
	v_add_u32_e32 v8, v2, v0
	v_not_b32_e32 v3, v8
	v_lshl_add_u32 v2, v8, 3, v19
	v_lshl_add_u32 v6, v3, 3, v20
	ds_read_b64 v[2:3], v2
	ds_read_b64 v[6:7], v6 offset:128
	v_add_u32_e32 v9, 1, v8
	s_waitcnt lgkmcnt(0)
	v_cmp_lt_i64_e32 vcc, v[6:7], v[2:3]
	v_cndmask_b32_e32 v1, v1, v8, vcc
	v_cndmask_b32_e32 v0, v9, v0, vcc
	v_cmp_ge_i32_e32 vcc, v0, v1
	s_or_b64 s[2:3], vcc, s[2:3]
	s_andn2_b64 exec, exec, s[2:3]
	s_cbranch_execnz .LBB23_34
; %bb.35:
	s_or_b64 exec, exec, s[2:3]
.LBB23_36:
	s_or_b64 exec, exec, s[0:1]
	v_sub_u32_e32 v1, v18, v0
	v_lshl_add_u32 v10, v0, 3, v19
	v_lshl_add_u32 v12, v1, 3, v19
	ds_read_b64 v[2:3], v10
	ds_read_b64 v[6:7], v12 offset:128
	v_add_u32_e32 v1, 16, v1
	v_cmp_lt_i32_e64 s[2:3], 15, v0
	v_cmp_gt_i32_e32 vcc, 32, v1
                                        ; implicit-def: $vgpr8_vgpr9
	s_waitcnt lgkmcnt(0)
	v_cmp_lt_i64_e64 s[0:1], v[6:7], v[2:3]
	s_or_b64 s[0:1], s[2:3], s[0:1]
	s_and_b64 vcc, vcc, s[0:1]
	s_xor_b64 s[0:1], vcc, -1
	s_and_saveexec_b64 s[2:3], s[0:1]
	s_xor_b64 s[0:1], exec, s[2:3]
; %bb.37:
	ds_read_b64 v[8:9], v10 offset:8
                                        ; implicit-def: $vgpr12
; %bb.38:
	s_or_saveexec_b64 s[0:1], s[0:1]
	v_mov_b32_e32 v11, v7
	v_mov_b32_e32 v10, v6
	s_xor_b64 exec, exec, s[0:1]
	s_cbranch_execz .LBB23_40
; %bb.39:
	ds_read_b64 v[10:11], v12 offset:136
	s_waitcnt lgkmcnt(1)
	v_mov_b32_e32 v9, v3
	v_mov_b32_e32 v8, v2
.LBB23_40:
	s_or_b64 exec, exec, s[0:1]
	v_add_u32_e32 v13, 1, v0
	v_add_u32_e32 v12, 1, v1
	v_cndmask_b32_e32 v0, v13, v0, vcc
	s_waitcnt lgkmcnt(0)
	v_cmp_lt_i64_e64 s[2:3], v[10:11], v[8:9]
	v_cndmask_b32_e32 v1, v1, v12, vcc
	v_cmp_lt_i32_e64 s[4:5], 15, v0
	v_cmp_gt_i32_e64 s[0:1], 32, v1
	s_or_b64 s[2:3], s[4:5], s[2:3]
	s_and_b64 s[0:1], s[0:1], s[2:3]
	s_xor_b64 s[2:3], s[0:1], -1
                                        ; implicit-def: $vgpr14_vgpr15
	s_and_saveexec_b64 s[4:5], s[2:3]
	s_xor_b64 s[2:3], exec, s[4:5]
; %bb.41:
	v_lshl_add_u32 v12, v0, 3, v19
	ds_read_b64 v[14:15], v12 offset:8
; %bb.42:
	s_or_saveexec_b64 s[2:3], s[2:3]
	v_mov_b32_e32 v13, v11
	v_mov_b32_e32 v12, v10
	s_xor_b64 exec, exec, s[2:3]
	s_cbranch_execz .LBB23_44
; %bb.43:
	v_lshl_add_u32 v12, v1, 3, v19
	ds_read_b64 v[12:13], v12 offset:8
	s_waitcnt lgkmcnt(1)
	v_mov_b32_e32 v15, v9
	v_mov_b32_e32 v14, v8
.LBB23_44:
	s_or_b64 exec, exec, s[2:3]
	v_add_u32_e32 v17, 1, v0
	v_add_u32_e32 v16, 1, v1
	v_cndmask_b32_e64 v21, v17, v0, s[0:1]
	s_waitcnt lgkmcnt(0)
	v_cmp_ge_i64_e64 s[4:5], v[12:13], v[14:15]
	v_cndmask_b32_e64 v18, v1, v16, s[0:1]
	v_cmp_gt_i32_e64 s[6:7], 16, v21
	v_cmp_lt_i32_e64 s[2:3], 31, v18
	s_and_b64 s[4:5], s[6:7], s[4:5]
	s_or_b64 s[2:3], s[2:3], s[4:5]
                                        ; implicit-def: $vgpr16_vgpr17
                                        ; implicit-def: $vgpr20
	s_and_saveexec_b64 s[4:5], s[2:3]
	s_xor_b64 s[2:3], exec, s[4:5]
; %bb.45:
	v_lshl_add_u32 v0, v21, 3, v19
	ds_read_b64 v[16:17], v0 offset:8
	v_add_u32_e32 v20, 1, v21
                                        ; implicit-def: $vgpr19
                                        ; implicit-def: $vgpr21
; %bb.46:
	s_or_saveexec_b64 s[2:3], s[2:3]
	v_mov_b32_e32 v0, v14
	v_mov_b32_e32 v1, v15
	s_xor_b64 exec, exec, s[2:3]
	s_cbranch_execz .LBB23_48
; %bb.47:
	v_lshl_add_u32 v0, v18, 3, v19
	ds_read_b64 v[22:23], v0 offset:8
	s_waitcnt lgkmcnt(1)
	v_add_u32_e32 v16, 1, v18
	v_mov_b32_e32 v0, v12
	v_mov_b32_e32 v1, v13
	;; [unrolled: 1-line block ×4, first 2 shown]
	s_waitcnt lgkmcnt(0)
	v_mov_b32_e32 v12, v22
	v_mov_b32_e32 v20, v21
	;; [unrolled: 1-line block ×4, first 2 shown]
.LBB23_48:
	s_or_b64 exec, exec, s[2:3]
	v_cndmask_b32_e64 v9, v9, v11, s[0:1]
	v_cndmask_b32_e64 v8, v8, v10, s[0:1]
	s_waitcnt lgkmcnt(0)
	v_cmp_lt_i64_e64 s[0:1], v[12:13], v[16:17]
	v_cmp_lt_i32_e64 s[2:3], 15, v20
	v_cndmask_b32_e32 v7, v3, v7, vcc
	v_cndmask_b32_e32 v6, v2, v6, vcc
	v_cmp_gt_i32_e32 vcc, 32, v18
	s_or_b64 s[0:1], s[2:3], s[0:1]
	s_and_b64 vcc, vcc, s[0:1]
	v_cndmask_b32_e32 v3, v17, v13, vcc
	v_cndmask_b32_e32 v2, v16, v12, vcc
	global_store_dwordx4 v[4:5], v[6:9], off
	global_store_dwordx4 v[4:5], v[0:3], off offset:16
	s_endpgm
	.section	.rodata,"a",@progbits
	.p2align	6, 0x0
	.amdhsa_kernel _Z14sort_keys_fullILj256ELj8ELj4ELb1ExN10test_utils4lessEEvPT3_T4_
		.amdhsa_group_segment_fixed_size 8448
		.amdhsa_private_segment_fixed_size 0
		.amdhsa_kernarg_size 12
		.amdhsa_user_sgpr_count 6
		.amdhsa_user_sgpr_private_segment_buffer 1
		.amdhsa_user_sgpr_dispatch_ptr 0
		.amdhsa_user_sgpr_queue_ptr 0
		.amdhsa_user_sgpr_kernarg_segment_ptr 1
		.amdhsa_user_sgpr_dispatch_id 0
		.amdhsa_user_sgpr_flat_scratch_init 0
		.amdhsa_user_sgpr_private_segment_size 0
		.amdhsa_uses_dynamic_stack 0
		.amdhsa_system_sgpr_private_segment_wavefront_offset 0
		.amdhsa_system_sgpr_workgroup_id_x 1
		.amdhsa_system_sgpr_workgroup_id_y 0
		.amdhsa_system_sgpr_workgroup_id_z 0
		.amdhsa_system_sgpr_workgroup_info 0
		.amdhsa_system_vgpr_workitem_id 0
		.amdhsa_next_free_vgpr 33
		.amdhsa_next_free_sgpr 77
		.amdhsa_reserve_vcc 1
		.amdhsa_reserve_flat_scratch 0
		.amdhsa_float_round_mode_32 0
		.amdhsa_float_round_mode_16_64 0
		.amdhsa_float_denorm_mode_32 3
		.amdhsa_float_denorm_mode_16_64 3
		.amdhsa_dx10_clamp 1
		.amdhsa_ieee_mode 1
		.amdhsa_fp16_overflow 0
		.amdhsa_exception_fp_ieee_invalid_op 0
		.amdhsa_exception_fp_denorm_src 0
		.amdhsa_exception_fp_ieee_div_zero 0
		.amdhsa_exception_fp_ieee_overflow 0
		.amdhsa_exception_fp_ieee_underflow 0
		.amdhsa_exception_fp_ieee_inexact 0
		.amdhsa_exception_int_div_zero 0
	.end_amdhsa_kernel
	.section	.text._Z14sort_keys_fullILj256ELj8ELj4ELb1ExN10test_utils4lessEEvPT3_T4_,"axG",@progbits,_Z14sort_keys_fullILj256ELj8ELj4ELb1ExN10test_utils4lessEEvPT3_T4_,comdat
.Lfunc_end23:
	.size	_Z14sort_keys_fullILj256ELj8ELj4ELb1ExN10test_utils4lessEEvPT3_T4_, .Lfunc_end23-_Z14sort_keys_fullILj256ELj8ELj4ELb1ExN10test_utils4lessEEvPT3_T4_
                                        ; -- End function
	.set _Z14sort_keys_fullILj256ELj8ELj4ELb1ExN10test_utils4lessEEvPT3_T4_.num_vgpr, 31
	.set _Z14sort_keys_fullILj256ELj8ELj4ELb1ExN10test_utils4lessEEvPT3_T4_.num_agpr, 0
	.set _Z14sort_keys_fullILj256ELj8ELj4ELb1ExN10test_utils4lessEEvPT3_T4_.numbered_sgpr, 8
	.set _Z14sort_keys_fullILj256ELj8ELj4ELb1ExN10test_utils4lessEEvPT3_T4_.num_named_barrier, 0
	.set _Z14sort_keys_fullILj256ELj8ELj4ELb1ExN10test_utils4lessEEvPT3_T4_.private_seg_size, 0
	.set _Z14sort_keys_fullILj256ELj8ELj4ELb1ExN10test_utils4lessEEvPT3_T4_.uses_vcc, 1
	.set _Z14sort_keys_fullILj256ELj8ELj4ELb1ExN10test_utils4lessEEvPT3_T4_.uses_flat_scratch, 0
	.set _Z14sort_keys_fullILj256ELj8ELj4ELb1ExN10test_utils4lessEEvPT3_T4_.has_dyn_sized_stack, 0
	.set _Z14sort_keys_fullILj256ELj8ELj4ELb1ExN10test_utils4lessEEvPT3_T4_.has_recursion, 0
	.set _Z14sort_keys_fullILj256ELj8ELj4ELb1ExN10test_utils4lessEEvPT3_T4_.has_indirect_call, 0
	.section	.AMDGPU.csdata,"",@progbits
; Kernel info:
; codeLenInByte = 2444
; TotalNumSgprs: 12
; NumVgprs: 31
; ScratchSize: 0
; MemoryBound: 0
; FloatMode: 240
; IeeeMode: 1
; LDSByteSize: 8448 bytes/workgroup (compile time only)
; SGPRBlocks: 10
; VGPRBlocks: 8
; NumSGPRsForWavesPerEU: 81
; NumVGPRsForWavesPerEU: 33
; Occupancy: 7
; WaveLimiterHint : 0
; COMPUTE_PGM_RSRC2:SCRATCH_EN: 0
; COMPUTE_PGM_RSRC2:USER_SGPR: 6
; COMPUTE_PGM_RSRC2:TRAP_HANDLER: 0
; COMPUTE_PGM_RSRC2:TGID_X_EN: 1
; COMPUTE_PGM_RSRC2:TGID_Y_EN: 0
; COMPUTE_PGM_RSRC2:TGID_Z_EN: 0
; COMPUTE_PGM_RSRC2:TIDIG_COMP_CNT: 0
	.section	.text._Z14sort_keys_fullILj256ELj32ELj8ELb0EN10test_utils16custom_test_typeIfEENS0_4lessEEvPT3_T4_,"axG",@progbits,_Z14sort_keys_fullILj256ELj32ELj8ELb0EN10test_utils16custom_test_typeIfEENS0_4lessEEvPT3_T4_,comdat
	.protected	_Z14sort_keys_fullILj256ELj32ELj8ELb0EN10test_utils16custom_test_typeIfEENS0_4lessEEvPT3_T4_ ; -- Begin function _Z14sort_keys_fullILj256ELj32ELj8ELb0EN10test_utils16custom_test_typeIfEENS0_4lessEEvPT3_T4_
	.globl	_Z14sort_keys_fullILj256ELj32ELj8ELb0EN10test_utils16custom_test_typeIfEENS0_4lessEEvPT3_T4_
	.p2align	8
	.type	_Z14sort_keys_fullILj256ELj32ELj8ELb0EN10test_utils16custom_test_typeIfEENS0_4lessEEvPT3_T4_,@function
_Z14sort_keys_fullILj256ELj32ELj8ELb0EN10test_utils16custom_test_typeIfEENS0_4lessEEvPT3_T4_: ; @_Z14sort_keys_fullILj256ELj32ELj8ELb0EN10test_utils16custom_test_typeIfEENS0_4lessEEvPT3_T4_
; %bb.0:
	s_load_dwordx2 s[0:1], s[4:5], 0x0
	s_lshl_b32 s2, s6, 11
	s_mov_b32 s3, 0
	s_lshl_b64 s[2:3], s[2:3], 3
	v_lshlrev_b32_e32 v19, 6, v0
	s_waitcnt lgkmcnt(0)
	s_add_u32 s2, s0, s2
	s_addc_u32 s3, s1, s3
	global_load_dwordx4 v[13:16], v19, s[2:3] offset:16
	global_load_dwordx4 v[1:4], v19, s[2:3]
	global_load_dwordx4 v[5:8], v19, s[2:3] offset:48
	global_load_dwordx4 v[9:12], v19, s[2:3] offset:32
	s_waitcnt vmcnt(2)
	v_cmp_lt_f32_e64 s[4:5], v3, v1
	v_cmp_nlt_f32_e32 vcc, v3, v1
	s_and_saveexec_b64 s[6:7], vcc
; %bb.1:
	v_cmp_eq_f32_e32 vcc, v3, v1
	v_cmp_lt_f32_e64 s[0:1], v4, v2
	s_and_b64 s[0:1], vcc, s[0:1]
	s_andn2_b64 s[4:5], s[4:5], exec
	s_and_b64 s[0:1], s[0:1], exec
	s_or_b64 s[4:5], s[4:5], s[0:1]
; %bb.2:
	s_or_b64 exec, exec, s[6:7]
	v_mov_b32_e32 v18, v4
	v_mov_b32_e32 v17, v3
	s_and_saveexec_b64 s[0:1], s[4:5]
; %bb.3:
	v_mov_b32_e32 v18, v2
	v_mov_b32_e32 v17, v1
	;; [unrolled: 1-line block ×4, first 2 shown]
; %bb.4:
	s_or_b64 exec, exec, s[0:1]
	v_cmp_lt_f32_e64 s[4:5], v15, v13
	v_cmp_nlt_f32_e32 vcc, v15, v13
	s_and_saveexec_b64 s[6:7], vcc
; %bb.5:
	v_cmp_eq_f32_e32 vcc, v15, v13
	v_cmp_lt_f32_e64 s[0:1], v16, v14
	s_and_b64 s[0:1], vcc, s[0:1]
	s_andn2_b64 s[4:5], s[4:5], exec
	s_and_b64 s[0:1], s[0:1], exec
	s_or_b64 s[4:5], s[4:5], s[0:1]
; %bb.6:
	s_or_b64 exec, exec, s[6:7]
	v_mov_b32_e32 v3, v16
	v_mov_b32_e32 v4, v15
	s_and_saveexec_b64 s[0:1], s[4:5]
; %bb.7:
	v_mov_b32_e32 v3, v14
	v_mov_b32_e32 v4, v13
	;; [unrolled: 1-line block ×4, first 2 shown]
; %bb.8:
	s_or_b64 exec, exec, s[0:1]
	s_waitcnt vmcnt(0)
	v_cmp_lt_f32_e64 s[4:5], v11, v9
	v_cmp_nlt_f32_e32 vcc, v11, v9
	s_and_saveexec_b64 s[6:7], vcc
; %bb.9:
	v_cmp_eq_f32_e32 vcc, v11, v9
	v_cmp_lt_f32_e64 s[0:1], v12, v10
	s_and_b64 s[0:1], vcc, s[0:1]
	s_andn2_b64 s[4:5], s[4:5], exec
	s_and_b64 s[0:1], s[0:1], exec
	s_or_b64 s[4:5], s[4:5], s[0:1]
; %bb.10:
	s_or_b64 exec, exec, s[6:7]
	v_mov_b32_e32 v15, v12
	v_mov_b32_e32 v16, v11
	s_and_saveexec_b64 s[0:1], s[4:5]
; %bb.11:
	v_mov_b32_e32 v15, v10
	v_mov_b32_e32 v16, v9
	;; [unrolled: 1-line block ×4, first 2 shown]
; %bb.12:
	s_or_b64 exec, exec, s[0:1]
	v_cmp_lt_f32_e64 s[4:5], v7, v5
	v_cmp_nlt_f32_e32 vcc, v7, v5
	s_and_saveexec_b64 s[6:7], vcc
; %bb.13:
	v_cmp_eq_f32_e32 vcc, v7, v5
	v_cmp_lt_f32_e64 s[0:1], v8, v6
	s_and_b64 s[0:1], vcc, s[0:1]
	s_andn2_b64 s[4:5], s[4:5], exec
	s_and_b64 s[0:1], s[0:1], exec
	s_or_b64 s[4:5], s[4:5], s[0:1]
; %bb.14:
	s_or_b64 exec, exec, s[6:7]
	v_mov_b32_e32 v11, v8
	v_mov_b32_e32 v12, v7
	s_and_saveexec_b64 s[0:1], s[4:5]
; %bb.15:
	v_mov_b32_e32 v11, v6
	v_mov_b32_e32 v12, v5
	;; [unrolled: 1-line block ×4, first 2 shown]
; %bb.16:
	s_or_b64 exec, exec, s[0:1]
	v_cmp_nlt_f32_e32 vcc, v13, v17
	s_mov_b64 s[0:1], -1
	s_and_saveexec_b64 s[4:5], vcc
	s_xor_b64 s[4:5], exec, s[4:5]
; %bb.17:
	v_cmp_eq_f32_e32 vcc, v13, v17
	v_cmp_lt_f32_e64 s[0:1], v14, v18
	s_and_b64 s[0:1], vcc, s[0:1]
	s_orn2_b64 s[0:1], s[0:1], exec
; %bb.18:
	s_or_b64 exec, exec, s[4:5]
	v_mov_b32_e32 v7, v14
	v_mov_b32_e32 v20, v13
	s_and_saveexec_b64 s[4:5], s[0:1]
; %bb.19:
	v_mov_b32_e32 v7, v18
	v_mov_b32_e32 v20, v17
	v_mov_b32_e32 v18, v14
	v_mov_b32_e32 v17, v13
; %bb.20:
	s_or_b64 exec, exec, s[4:5]
	v_cmp_lt_f32_e64 s[4:5], v9, v4
	v_cmp_nlt_f32_e32 vcc, v9, v4
	s_and_saveexec_b64 s[6:7], vcc
; %bb.21:
	v_cmp_eq_f32_e32 vcc, v9, v4
	v_cmp_lt_f32_e64 s[0:1], v10, v3
	s_and_b64 s[0:1], vcc, s[0:1]
	s_andn2_b64 s[4:5], s[4:5], exec
	s_and_b64 s[0:1], s[0:1], exec
	s_or_b64 s[4:5], s[4:5], s[0:1]
; %bb.22:
	s_or_b64 exec, exec, s[6:7]
	v_mov_b32_e32 v8, v10
	v_mov_b32_e32 v21, v9
	s_and_saveexec_b64 s[0:1], s[4:5]
; %bb.23:
	v_mov_b32_e32 v8, v3
	v_mov_b32_e32 v21, v4
	v_mov_b32_e32 v3, v10
	v_mov_b32_e32 v4, v9
; %bb.24:
	s_or_b64 exec, exec, s[0:1]
	v_cmp_lt_f32_e64 s[4:5], v5, v16
	v_cmp_nlt_f32_e32 vcc, v5, v16
	s_and_saveexec_b64 s[6:7], vcc
; %bb.25:
	v_cmp_eq_f32_e32 vcc, v5, v16
	v_cmp_lt_f32_e64 s[0:1], v6, v15
	s_and_b64 s[0:1], vcc, s[0:1]
	s_andn2_b64 s[4:5], s[4:5], exec
	s_and_b64 s[0:1], s[0:1], exec
	s_or_b64 s[4:5], s[4:5], s[0:1]
	;; [unrolled: 22-line block ×23, first 2 shown]
; %bb.110:
	s_or_b64 exec, exec, s[6:7]
	v_mov_b32_e32 v2, s3
	v_mov_b32_e32 v16, v1
	;; [unrolled: 1-line block ×3, first 2 shown]
	s_and_saveexec_b64 s[0:1], s[4:5]
; %bb.111:
	v_mov_b32_e32 v16, v8
	v_mov_b32_e32 v15, v7
	;; [unrolled: 1-line block ×4, first 2 shown]
; %bb.112:
	s_or_b64 exec, exec, s[0:1]
	v_mbcnt_lo_u32_b32 v20, -1, 0
	v_mbcnt_hi_u32_b32 v20, -1, v20
	v_lshlrev_b32_e32 v37, 3, v20
	v_and_b32_e32 v35, 0xf8, v37
	v_lshrrev_b32_e32 v0, 5, v0
	s_movk_i32 s0, 0x808
	v_lshlrev_b32_e32 v20, 3, v35
	v_mad_u32_u24 v36, v0, s0, v20
	; wave barrier
	ds_write2_b64 v36, v[3:4], v[17:18] offset1:1
	ds_write2_b64 v36, v[11:12], v[5:6] offset0:2 offset1:3
	ds_write2_b64 v36, v[13:14], v[7:8] offset0:4 offset1:5
	;; [unrolled: 1-line block ×3, first 2 shown]
	v_and_b32_e32 v11, 0xf0, v37
	v_or_b32_e32 v38, 8, v11
	v_add_co_u32_e32 v1, vcc, s2, v19
	v_and_b32_e32 v7, 8, v37
	v_sub_u32_e32 v4, v38, v11
	v_addc_co_u32_e32 v2, vcc, 0, v2, vcc
	v_lshlrev_b32_e32 v3, 3, v11
	v_min_i32_e32 v4, v7, v4
	v_mov_b32_e32 v19, 0
	v_mad_u32_u24 v3, v0, s0, v3
	v_cmp_lt_i32_e32 vcc, 0, v4
	; wave barrier
	s_and_saveexec_b64 s[0:1], vcc
	s_cbranch_execz .LBB24_120
; %bb.113:
	v_lshl_add_u32 v5, v7, 3, v3
	v_mov_b32_e32 v19, 0
	s_mov_b64 s[2:3], 0
                                        ; implicit-def: $sgpr4_sgpr5
	s_branch .LBB24_116
.LBB24_114:                             ;   in Loop: Header=BB24_116 Depth=1
	s_or_b64 exec, exec, s[10:11]
	s_andn2_b64 s[4:5], s[4:5], exec
	s_and_b64 s[8:9], s[8:9], exec
	s_or_b64 s[4:5], s[4:5], s[8:9]
.LBB24_115:                             ;   in Loop: Header=BB24_116 Depth=1
	s_or_b64 exec, exec, s[6:7]
	v_add_u32_e32 v8, 1, v6
	v_cndmask_b32_e64 v4, v4, v6, s[4:5]
	v_cndmask_b32_e64 v19, v8, v19, s[4:5]
	v_cmp_ge_i32_e32 vcc, v19, v4
	s_or_b64 s[2:3], vcc, s[2:3]
	s_andn2_b64 exec, exec, s[2:3]
	s_cbranch_execz .LBB24_119
.LBB24_116:                             ; =>This Inner Loop Header: Depth=1
	v_sub_u32_e32 v6, v4, v19
	v_lshrrev_b32_e32 v6, 1, v6
	v_add_u32_e32 v6, v6, v19
	v_lshl_add_u32 v8, v6, 3, v3
	v_not_b32_e32 v9, v6
	v_lshl_add_u32 v9, v9, 3, v5
	ds_read_b32 v10, v8
	ds_read_b32 v12, v9 offset:64
	s_or_b64 s[4:5], s[4:5], exec
	s_waitcnt lgkmcnt(0)
	v_cmp_nlt_f32_e32 vcc, v12, v10
	s_and_saveexec_b64 s[6:7], vcc
	s_cbranch_execz .LBB24_115
; %bb.117:                              ;   in Loop: Header=BB24_116 Depth=1
	v_cmp_eq_f32_e32 vcc, v12, v10
	s_mov_b64 s[8:9], 0
	s_and_saveexec_b64 s[10:11], vcc
	s_cbranch_execz .LBB24_114
; %bb.118:                              ;   in Loop: Header=BB24_116 Depth=1
	ds_read_b32 v9, v9 offset:68
	ds_read_b32 v8, v8 offset:4
	s_waitcnt lgkmcnt(0)
	v_cmp_lt_f32_e32 vcc, v9, v8
	s_and_b64 s[8:9], vcc, exec
	s_branch .LBB24_114
.LBB24_119:
	s_or_b64 exec, exec, s[2:3]
.LBB24_120:
	s_or_b64 exec, exec, s[0:1]
	v_lshl_add_u32 v10, v19, 3, v3
	v_add_u32_e32 v3, v11, v7
	v_mul_u32_u24_e32 v0, 0x808, v0
	v_sub_u32_e32 v3, v3, v19
	v_lshl_add_u32 v13, v3, 3, v0
	ds_read_b64 v[3:4], v13 offset:64
	ds_read_b64 v[5:6], v10
	v_add_u32_e32 v7, v38, v7
	v_add_u32_e32 v39, 16, v11
	v_sub_u32_e32 v12, v7, v19
	s_waitcnt lgkmcnt(1)
	v_mov_b32_e32 v7, v3
	v_mov_b32_e32 v8, v4
	v_cmp_gt_i32_e32 vcc, v39, v12
	s_mov_b64 s[2:3], 0
	s_and_saveexec_b64 s[4:5], vcc
	s_cbranch_execz .LBB24_126
; %bb.121:
	v_cmp_gt_i32_e32 vcc, 8, v19
	s_waitcnt lgkmcnt(0)
	v_cmp_nlt_f32_e64 s[0:1], v3, v5
	s_and_b64 s[6:7], vcc, s[0:1]
	s_mov_b64 s[2:3], -1
	s_and_saveexec_b64 s[0:1], s[6:7]
	s_cbranch_execz .LBB24_125
; %bb.122:
	v_cmp_eq_f32_e32 vcc, v3, v5
	s_mov_b64 s[2:3], 0
	s_and_saveexec_b64 s[6:7], vcc
; %bb.123:
	v_cmp_lt_f32_e32 vcc, v4, v6
	s_and_b64 s[2:3], vcc, exec
; %bb.124:
	s_or_b64 exec, exec, s[6:7]
	s_orn2_b64 s[2:3], s[2:3], exec
.LBB24_125:
	s_or_b64 exec, exec, s[0:1]
	s_and_b64 s[2:3], s[2:3], exec
.LBB24_126:
	s_or_b64 exec, exec, s[4:5]
	s_xor_b64 s[0:1], s[2:3], -1
                                        ; implicit-def: $vgpr9
	s_and_saveexec_b64 s[4:5], s[0:1]
	s_xor_b64 s[0:1], exec, s[4:5]
; %bb.127:
	ds_read_b64 v[9:10], v10 offset:8
                                        ; implicit-def: $vgpr13
; %bb.128:
	s_andn2_saveexec_b64 s[0:1], s[0:1]
	s_cbranch_execz .LBB24_130
; %bb.129:
	ds_read_b64 v[7:8], v13 offset:72
	s_waitcnt lgkmcnt(1)
	v_mov_b32_e32 v10, v6
	v_mov_b32_e32 v9, v5
.LBB24_130:
	s_or_b64 exec, exec, s[0:1]
	v_add_u32_e32 v11, v19, v11
	v_add_u32_e32 v13, 1, v12
	;; [unrolled: 1-line block ×3, first 2 shown]
	v_cndmask_b32_e64 v15, v12, v13, s[2:3]
	v_cndmask_b32_e64 v16, v14, v11, s[2:3]
	v_cmp_lt_i32_e32 vcc, v15, v39
	s_mov_b64 s[4:5], 0
	s_and_saveexec_b64 s[6:7], vcc
	s_cbranch_execz .LBB24_136
; %bb.131:
	v_cmp_lt_i32_e32 vcc, v16, v38
	s_waitcnt lgkmcnt(0)
	v_cmp_nlt_f32_e64 s[0:1], v7, v9
	s_and_b64 s[8:9], vcc, s[0:1]
	s_mov_b64 s[4:5], -1
	s_and_saveexec_b64 s[0:1], s[8:9]
	s_cbranch_execz .LBB24_135
; %bb.132:
	v_cmp_eq_f32_e32 vcc, v7, v9
	s_mov_b64 s[4:5], 0
	s_and_saveexec_b64 s[8:9], vcc
; %bb.133:
	v_cmp_lt_f32_e32 vcc, v8, v10
	s_and_b64 s[4:5], vcc, exec
; %bb.134:
	s_or_b64 exec, exec, s[8:9]
	s_orn2_b64 s[4:5], s[4:5], exec
.LBB24_135:
	s_or_b64 exec, exec, s[0:1]
	s_and_b64 s[4:5], s[4:5], exec
.LBB24_136:
	s_or_b64 exec, exec, s[6:7]
	s_xor_b64 s[0:1], s[4:5], -1
                                        ; implicit-def: $vgpr11
	s_and_saveexec_b64 s[6:7], s[0:1]
	s_xor_b64 s[0:1], exec, s[6:7]
; %bb.137:
	v_lshl_add_u32 v11, v16, 3, v0
	ds_read_b64 v[11:12], v11 offset:8
; %bb.138:
	s_or_saveexec_b64 s[0:1], s[0:1]
	s_waitcnt lgkmcnt(0)
	v_mov_b32_e32 v13, v7
	v_mov_b32_e32 v14, v8
	s_xor_b64 exec, exec, s[0:1]
; %bb.139:
	v_lshl_add_u32 v11, v15, 3, v0
	ds_read_b64 v[13:14], v11 offset:8
	v_mov_b32_e32 v12, v10
	v_mov_b32_e32 v11, v9
; %bb.140:
	s_or_b64 exec, exec, s[0:1]
	v_add_u32_e32 v17, 1, v15
	v_add_u32_e32 v18, 1, v16
	v_cndmask_b32_e64 v19, v15, v17, s[4:5]
	v_cndmask_b32_e64 v20, v18, v16, s[4:5]
	v_cmp_lt_i32_e32 vcc, v19, v39
	s_mov_b64 s[6:7], 0
	s_and_saveexec_b64 s[8:9], vcc
	s_cbranch_execz .LBB24_146
; %bb.141:
	v_cmp_lt_i32_e32 vcc, v20, v38
	s_waitcnt lgkmcnt(0)
	v_cmp_nlt_f32_e64 s[0:1], v13, v11
	s_and_b64 s[10:11], vcc, s[0:1]
	s_mov_b64 s[6:7], -1
	s_and_saveexec_b64 s[0:1], s[10:11]
	s_cbranch_execz .LBB24_145
; %bb.142:
	v_cmp_eq_f32_e32 vcc, v13, v11
	s_mov_b64 s[6:7], 0
	s_and_saveexec_b64 s[10:11], vcc
; %bb.143:
	v_cmp_lt_f32_e32 vcc, v14, v12
	s_and_b64 s[6:7], vcc, exec
; %bb.144:
	s_or_b64 exec, exec, s[10:11]
	s_orn2_b64 s[6:7], s[6:7], exec
.LBB24_145:
	s_or_b64 exec, exec, s[0:1]
	s_and_b64 s[6:7], s[6:7], exec
.LBB24_146:
	s_or_b64 exec, exec, s[8:9]
	s_xor_b64 s[0:1], s[6:7], -1
                                        ; implicit-def: $vgpr15
	s_and_saveexec_b64 s[8:9], s[0:1]
	s_xor_b64 s[0:1], exec, s[8:9]
; %bb.147:
	v_lshl_add_u32 v15, v20, 3, v0
	ds_read_b64 v[15:16], v15 offset:8
; %bb.148:
	s_or_saveexec_b64 s[0:1], s[0:1]
	s_waitcnt lgkmcnt(0)
	v_mov_b32_e32 v17, v13
	v_mov_b32_e32 v18, v14
	s_xor_b64 exec, exec, s[0:1]
; %bb.149:
	v_lshl_add_u32 v15, v19, 3, v0
	ds_read_b64 v[17:18], v15 offset:8
	v_mov_b32_e32 v16, v12
	v_mov_b32_e32 v15, v11
; %bb.150:
	s_or_b64 exec, exec, s[0:1]
	v_add_u32_e32 v21, 1, v19
	v_add_u32_e32 v22, 1, v20
	v_cndmask_b32_e64 v23, v19, v21, s[6:7]
	v_cndmask_b32_e64 v24, v22, v20, s[6:7]
	v_cmp_lt_i32_e32 vcc, v23, v39
	s_mov_b64 s[8:9], 0
	s_and_saveexec_b64 s[10:11], vcc
	s_cbranch_execz .LBB24_156
; %bb.151:
	v_cmp_lt_i32_e32 vcc, v24, v38
	s_waitcnt lgkmcnt(0)
	v_cmp_nlt_f32_e64 s[0:1], v17, v15
	s_and_b64 s[12:13], vcc, s[0:1]
	s_mov_b64 s[8:9], -1
	s_and_saveexec_b64 s[0:1], s[12:13]
	s_cbranch_execz .LBB24_155
; %bb.152:
	v_cmp_eq_f32_e32 vcc, v17, v15
	s_mov_b64 s[8:9], 0
	s_and_saveexec_b64 s[12:13], vcc
; %bb.153:
	v_cmp_lt_f32_e32 vcc, v18, v16
	s_and_b64 s[8:9], vcc, exec
; %bb.154:
	s_or_b64 exec, exec, s[12:13]
	s_orn2_b64 s[8:9], s[8:9], exec
.LBB24_155:
	s_or_b64 exec, exec, s[0:1]
	s_and_b64 s[8:9], s[8:9], exec
.LBB24_156:
	s_or_b64 exec, exec, s[10:11]
	s_xor_b64 s[0:1], s[8:9], -1
                                        ; implicit-def: $vgpr19
	s_and_saveexec_b64 s[10:11], s[0:1]
	s_xor_b64 s[0:1], exec, s[10:11]
; %bb.157:
	v_lshl_add_u32 v19, v24, 3, v0
	ds_read_b64 v[19:20], v19 offset:8
; %bb.158:
	s_or_saveexec_b64 s[0:1], s[0:1]
	s_waitcnt lgkmcnt(0)
	v_mov_b32_e32 v21, v17
	v_mov_b32_e32 v22, v18
	s_xor_b64 exec, exec, s[0:1]
; %bb.159:
	v_lshl_add_u32 v19, v23, 3, v0
	ds_read_b64 v[21:22], v19 offset:8
	v_mov_b32_e32 v20, v16
	v_mov_b32_e32 v19, v15
; %bb.160:
	s_or_b64 exec, exec, s[0:1]
	v_add_u32_e32 v25, 1, v23
	v_add_u32_e32 v26, 1, v24
	v_cndmask_b32_e64 v27, v23, v25, s[8:9]
	v_cndmask_b32_e64 v28, v26, v24, s[8:9]
	v_cmp_lt_i32_e32 vcc, v27, v39
	s_mov_b64 s[10:11], 0
	s_and_saveexec_b64 s[12:13], vcc
	s_cbranch_execz .LBB24_166
; %bb.161:
	v_cmp_lt_i32_e32 vcc, v28, v38
	s_waitcnt lgkmcnt(0)
	v_cmp_nlt_f32_e64 s[0:1], v21, v19
	s_and_b64 s[14:15], vcc, s[0:1]
	s_mov_b64 s[10:11], -1
	s_and_saveexec_b64 s[0:1], s[14:15]
	s_cbranch_execz .LBB24_165
; %bb.162:
	v_cmp_eq_f32_e32 vcc, v21, v19
	s_mov_b64 s[10:11], 0
	s_and_saveexec_b64 s[14:15], vcc
; %bb.163:
	v_cmp_lt_f32_e32 vcc, v22, v20
	s_and_b64 s[10:11], vcc, exec
; %bb.164:
	s_or_b64 exec, exec, s[14:15]
	s_orn2_b64 s[10:11], s[10:11], exec
.LBB24_165:
	s_or_b64 exec, exec, s[0:1]
	s_and_b64 s[10:11], s[10:11], exec
.LBB24_166:
	s_or_b64 exec, exec, s[12:13]
	s_xor_b64 s[0:1], s[10:11], -1
                                        ; implicit-def: $vgpr23
	s_and_saveexec_b64 s[12:13], s[0:1]
	s_xor_b64 s[0:1], exec, s[12:13]
; %bb.167:
	v_lshl_add_u32 v23, v28, 3, v0
	ds_read_b64 v[23:24], v23 offset:8
; %bb.168:
	s_or_saveexec_b64 s[0:1], s[0:1]
	s_waitcnt lgkmcnt(0)
	v_mov_b32_e32 v25, v21
	v_mov_b32_e32 v26, v22
	s_xor_b64 exec, exec, s[0:1]
; %bb.169:
	v_lshl_add_u32 v23, v27, 3, v0
	ds_read_b64 v[25:26], v23 offset:8
	v_mov_b32_e32 v24, v20
	v_mov_b32_e32 v23, v19
; %bb.170:
	s_or_b64 exec, exec, s[0:1]
	v_add_u32_e32 v29, 1, v27
	v_add_u32_e32 v30, 1, v28
	v_cndmask_b32_e64 v31, v27, v29, s[10:11]
	v_cndmask_b32_e64 v32, v30, v28, s[10:11]
	v_cmp_lt_i32_e32 vcc, v31, v39
	s_mov_b64 s[12:13], 0
	s_and_saveexec_b64 s[14:15], vcc
	s_cbranch_execz .LBB24_176
; %bb.171:
	v_cmp_lt_i32_e32 vcc, v32, v38
	s_waitcnt lgkmcnt(0)
	v_cmp_nlt_f32_e64 s[0:1], v25, v23
	s_and_b64 s[16:17], vcc, s[0:1]
	s_mov_b64 s[12:13], -1
	s_and_saveexec_b64 s[0:1], s[16:17]
	s_cbranch_execz .LBB24_175
; %bb.172:
	v_cmp_eq_f32_e32 vcc, v25, v23
	s_mov_b64 s[12:13], 0
	s_and_saveexec_b64 s[16:17], vcc
; %bb.173:
	v_cmp_lt_f32_e32 vcc, v26, v24
	s_and_b64 s[12:13], vcc, exec
; %bb.174:
	s_or_b64 exec, exec, s[16:17]
	s_orn2_b64 s[12:13], s[12:13], exec
.LBB24_175:
	s_or_b64 exec, exec, s[0:1]
	s_and_b64 s[12:13], s[12:13], exec
.LBB24_176:
	s_or_b64 exec, exec, s[14:15]
	s_xor_b64 s[0:1], s[12:13], -1
                                        ; implicit-def: $vgpr27
	s_and_saveexec_b64 s[14:15], s[0:1]
	s_xor_b64 s[0:1], exec, s[14:15]
; %bb.177:
	v_lshl_add_u32 v27, v32, 3, v0
	ds_read_b64 v[27:28], v27 offset:8
; %bb.178:
	s_or_saveexec_b64 s[0:1], s[0:1]
	s_waitcnt lgkmcnt(0)
	v_mov_b32_e32 v29, v25
	v_mov_b32_e32 v30, v26
	s_xor_b64 exec, exec, s[0:1]
; %bb.179:
	v_lshl_add_u32 v27, v31, 3, v0
	ds_read_b64 v[29:30], v27 offset:8
	v_mov_b32_e32 v28, v24
	v_mov_b32_e32 v27, v23
; %bb.180:
	s_or_b64 exec, exec, s[0:1]
	v_add_u32_e32 v33, 1, v31
	v_add_u32_e32 v34, 1, v32
	v_cndmask_b32_e64 v41, v31, v33, s[12:13]
	v_cndmask_b32_e64 v40, v34, v32, s[12:13]
	v_cmp_lt_i32_e32 vcc, v41, v39
	s_mov_b64 s[14:15], 0
	s_and_saveexec_b64 s[16:17], vcc
	s_cbranch_execz .LBB24_186
; %bb.181:
	v_cmp_lt_i32_e32 vcc, v40, v38
	s_waitcnt lgkmcnt(0)
	v_cmp_nlt_f32_e64 s[0:1], v29, v27
	s_and_b64 s[18:19], vcc, s[0:1]
	s_mov_b64 s[14:15], -1
	s_and_saveexec_b64 s[0:1], s[18:19]
	s_cbranch_execz .LBB24_185
; %bb.182:
	v_cmp_eq_f32_e32 vcc, v29, v27
	s_mov_b64 s[14:15], 0
	s_and_saveexec_b64 s[18:19], vcc
; %bb.183:
	v_cmp_lt_f32_e32 vcc, v30, v28
	s_and_b64 s[14:15], vcc, exec
; %bb.184:
	s_or_b64 exec, exec, s[18:19]
	s_orn2_b64 s[14:15], s[14:15], exec
.LBB24_185:
	s_or_b64 exec, exec, s[0:1]
	s_and_b64 s[14:15], s[14:15], exec
.LBB24_186:
	s_or_b64 exec, exec, s[16:17]
	s_xor_b64 s[0:1], s[14:15], -1
                                        ; implicit-def: $vgpr31
	s_and_saveexec_b64 s[16:17], s[0:1]
	s_xor_b64 s[0:1], exec, s[16:17]
; %bb.187:
	v_lshl_add_u32 v31, v40, 3, v0
	ds_read_b64 v[31:32], v31 offset:8
; %bb.188:
	s_or_saveexec_b64 s[0:1], s[0:1]
	s_waitcnt lgkmcnt(0)
	v_mov_b32_e32 v33, v29
	v_mov_b32_e32 v34, v30
	s_xor_b64 exec, exec, s[0:1]
; %bb.189:
	v_lshl_add_u32 v31, v41, 3, v0
	ds_read_b64 v[33:34], v31 offset:8
	v_mov_b32_e32 v32, v28
	v_mov_b32_e32 v31, v27
; %bb.190:
	s_or_b64 exec, exec, s[0:1]
	v_add_u32_e32 v42, 1, v41
	v_cndmask_b32_e64 v41, v41, v42, s[14:15]
	v_cmp_lt_i32_e32 vcc, v41, v39
	s_mov_b64 s[0:1], 0
	s_and_saveexec_b64 s[16:17], vcc
	s_cbranch_execz .LBB24_196
; %bb.191:
	v_add_u32_e32 v39, 1, v40
	v_cndmask_b32_e64 v39, v39, v40, s[14:15]
	v_cmp_lt_i32_e32 vcc, v39, v38
	s_waitcnt lgkmcnt(0)
	v_cmp_nlt_f32_e64 s[0:1], v33, v31
	s_and_b64 s[20:21], vcc, s[0:1]
	s_mov_b64 s[18:19], -1
	s_and_saveexec_b64 s[0:1], s[20:21]
	s_cbranch_execz .LBB24_195
; %bb.192:
	v_cmp_eq_f32_e32 vcc, v33, v31
	s_mov_b64 s[18:19], 0
	s_and_saveexec_b64 s[20:21], vcc
; %bb.193:
	v_cmp_lt_f32_e32 vcc, v34, v32
	s_and_b64 s[18:19], vcc, exec
; %bb.194:
	s_or_b64 exec, exec, s[20:21]
	s_orn2_b64 s[18:19], s[18:19], exec
.LBB24_195:
	s_or_b64 exec, exec, s[0:1]
	s_and_b64 s[0:1], s[18:19], exec
.LBB24_196:
	s_or_b64 exec, exec, s[16:17]
	v_cndmask_b32_e64 v11, v11, v13, s[6:7]
	v_cndmask_b32_e64 v7, v9, v7, s[4:5]
	v_cndmask_b32_e64 v8, v10, v8, s[4:5]
	v_cndmask_b32_e64 v3, v5, v3, s[2:3]
	v_cndmask_b32_e64 v4, v6, v4, s[2:3]
	v_cndmask_b32_e64 v27, v27, v29, s[14:15]
	v_cndmask_b32_e64 v28, v28, v30, s[14:15]
	v_cndmask_b32_e64 v23, v23, v25, s[12:13]
	v_cndmask_b32_e64 v24, v24, v26, s[12:13]
	v_cndmask_b32_e64 v19, v19, v21, s[10:11]
	v_cndmask_b32_e64 v20, v20, v22, s[10:11]
	v_cndmask_b32_e64 v15, v15, v17, s[8:9]
	v_cndmask_b32_e64 v16, v16, v18, s[8:9]
	v_cndmask_b32_e64 v12, v12, v14, s[6:7]
	s_waitcnt lgkmcnt(0)
	v_cndmask_b32_e64 v5, v31, v33, s[0:1]
	v_cndmask_b32_e64 v6, v32, v34, s[0:1]
	; wave barrier
	ds_write2_b64 v36, v[3:4], v[7:8] offset1:1
	ds_write2_b64 v36, v[11:12], v[15:16] offset0:2 offset1:3
	ds_write2_b64 v36, v[19:20], v[23:24] offset0:4 offset1:5
	;; [unrolled: 1-line block ×3, first 2 shown]
	v_and_b32_e32 v11, 0xe0, v37
	v_or_b32_e32 v38, 16, v11
	v_and_b32_e32 v7, 24, v37
	v_sub_u32_e32 v4, v38, v11
	v_sub_u32_e64 v12, v7, 16 clamp
	v_min_i32_e32 v4, v7, v4
	v_lshl_add_u32 v3, v11, 3, v0
	v_cmp_lt_i32_e32 vcc, v12, v4
	; wave barrier
	s_and_saveexec_b64 s[0:1], vcc
	s_cbranch_execz .LBB24_204
; %bb.197:
	v_lshl_add_u32 v5, v7, 3, v3
	s_mov_b64 s[2:3], 0
                                        ; implicit-def: $sgpr4_sgpr5
	s_branch .LBB24_200
.LBB24_198:                             ;   in Loop: Header=BB24_200 Depth=1
	s_or_b64 exec, exec, s[10:11]
	s_andn2_b64 s[4:5], s[4:5], exec
	s_and_b64 s[8:9], s[8:9], exec
	s_or_b64 s[4:5], s[4:5], s[8:9]
.LBB24_199:                             ;   in Loop: Header=BB24_200 Depth=1
	s_or_b64 exec, exec, s[6:7]
	v_add_u32_e32 v8, 1, v6
	v_cndmask_b32_e64 v4, v4, v6, s[4:5]
	v_cndmask_b32_e64 v12, v8, v12, s[4:5]
	v_cmp_ge_i32_e32 vcc, v12, v4
	s_or_b64 s[2:3], vcc, s[2:3]
	s_andn2_b64 exec, exec, s[2:3]
	s_cbranch_execz .LBB24_203
.LBB24_200:                             ; =>This Inner Loop Header: Depth=1
	v_sub_u32_e32 v6, v4, v12
	v_lshrrev_b32_e32 v6, 1, v6
	v_add_u32_e32 v6, v6, v12
	v_lshl_add_u32 v8, v6, 3, v3
	v_not_b32_e32 v9, v6
	v_lshl_add_u32 v9, v9, 3, v5
	ds_read_b32 v10, v8
	ds_read_b32 v13, v9 offset:128
	s_or_b64 s[4:5], s[4:5], exec
	s_waitcnt lgkmcnt(0)
	v_cmp_nlt_f32_e32 vcc, v13, v10
	s_and_saveexec_b64 s[6:7], vcc
	s_cbranch_execz .LBB24_199
; %bb.201:                              ;   in Loop: Header=BB24_200 Depth=1
	v_cmp_eq_f32_e32 vcc, v13, v10
	s_mov_b64 s[8:9], 0
	s_and_saveexec_b64 s[10:11], vcc
	s_cbranch_execz .LBB24_198
; %bb.202:                              ;   in Loop: Header=BB24_200 Depth=1
	ds_read_b32 v9, v9 offset:132
	ds_read_b32 v8, v8 offset:4
	s_waitcnt lgkmcnt(0)
	v_cmp_lt_f32_e32 vcc, v9, v8
	s_and_b64 s[8:9], vcc, exec
	s_branch .LBB24_198
.LBB24_203:
	s_or_b64 exec, exec, s[2:3]
.LBB24_204:
	s_or_b64 exec, exec, s[0:1]
	v_lshl_add_u32 v10, v12, 3, v3
	v_add_u32_e32 v3, v11, v7
	v_sub_u32_e32 v3, v3, v12
	v_lshl_add_u32 v14, v3, 3, v0
	ds_read_b64 v[3:4], v14 offset:128
	ds_read_b64 v[5:6], v10
	v_add_u32_e32 v7, v38, v7
	v_add_u32_e32 v39, 32, v11
	v_sub_u32_e32 v13, v7, v12
	s_waitcnt lgkmcnt(1)
	v_mov_b32_e32 v7, v3
	v_mov_b32_e32 v8, v4
	v_cmp_gt_i32_e32 vcc, v39, v13
	s_mov_b64 s[2:3], 0
	s_and_saveexec_b64 s[4:5], vcc
	s_cbranch_execz .LBB24_210
; %bb.205:
	v_cmp_gt_i32_e32 vcc, 16, v12
	s_waitcnt lgkmcnt(0)
	v_cmp_nlt_f32_e64 s[0:1], v3, v5
	s_and_b64 s[6:7], vcc, s[0:1]
	s_mov_b64 s[2:3], -1
	s_and_saveexec_b64 s[0:1], s[6:7]
	s_cbranch_execz .LBB24_209
; %bb.206:
	v_cmp_eq_f32_e32 vcc, v3, v5
	s_mov_b64 s[2:3], 0
	s_and_saveexec_b64 s[6:7], vcc
; %bb.207:
	v_cmp_lt_f32_e32 vcc, v4, v6
	s_and_b64 s[2:3], vcc, exec
; %bb.208:
	s_or_b64 exec, exec, s[6:7]
	s_orn2_b64 s[2:3], s[2:3], exec
.LBB24_209:
	s_or_b64 exec, exec, s[0:1]
	s_and_b64 s[2:3], s[2:3], exec
.LBB24_210:
	s_or_b64 exec, exec, s[4:5]
	s_xor_b64 s[0:1], s[2:3], -1
                                        ; implicit-def: $vgpr9
	s_and_saveexec_b64 s[4:5], s[0:1]
	s_xor_b64 s[0:1], exec, s[4:5]
; %bb.211:
	ds_read_b64 v[9:10], v10 offset:8
                                        ; implicit-def: $vgpr14
; %bb.212:
	s_andn2_saveexec_b64 s[0:1], s[0:1]
	s_cbranch_execz .LBB24_214
; %bb.213:
	ds_read_b64 v[7:8], v14 offset:136
	s_waitcnt lgkmcnt(1)
	v_mov_b32_e32 v10, v6
	v_mov_b32_e32 v9, v5
.LBB24_214:
	s_or_b64 exec, exec, s[0:1]
	v_add_u32_e32 v11, v12, v11
	v_add_u32_e32 v12, 1, v13
	;; [unrolled: 1-line block ×3, first 2 shown]
	v_cndmask_b32_e64 v15, v13, v12, s[2:3]
	v_cndmask_b32_e64 v16, v14, v11, s[2:3]
	v_cmp_lt_i32_e32 vcc, v15, v39
	s_mov_b64 s[4:5], 0
	s_and_saveexec_b64 s[6:7], vcc
	s_cbranch_execz .LBB24_220
; %bb.215:
	v_cmp_lt_i32_e32 vcc, v16, v38
	s_waitcnt lgkmcnt(0)
	v_cmp_nlt_f32_e64 s[0:1], v7, v9
	s_and_b64 s[8:9], vcc, s[0:1]
	s_mov_b64 s[4:5], -1
	s_and_saveexec_b64 s[0:1], s[8:9]
	s_cbranch_execz .LBB24_219
; %bb.216:
	v_cmp_eq_f32_e32 vcc, v7, v9
	s_mov_b64 s[4:5], 0
	s_and_saveexec_b64 s[8:9], vcc
; %bb.217:
	v_cmp_lt_f32_e32 vcc, v8, v10
	s_and_b64 s[4:5], vcc, exec
; %bb.218:
	s_or_b64 exec, exec, s[8:9]
	s_orn2_b64 s[4:5], s[4:5], exec
.LBB24_219:
	s_or_b64 exec, exec, s[0:1]
	s_and_b64 s[4:5], s[4:5], exec
.LBB24_220:
	s_or_b64 exec, exec, s[6:7]
	s_xor_b64 s[0:1], s[4:5], -1
                                        ; implicit-def: $vgpr11
	s_and_saveexec_b64 s[6:7], s[0:1]
	s_xor_b64 s[0:1], exec, s[6:7]
; %bb.221:
	v_lshl_add_u32 v11, v16, 3, v0
	ds_read_b64 v[11:12], v11 offset:8
; %bb.222:
	s_or_saveexec_b64 s[0:1], s[0:1]
	s_waitcnt lgkmcnt(0)
	v_mov_b32_e32 v13, v7
	v_mov_b32_e32 v14, v8
	s_xor_b64 exec, exec, s[0:1]
; %bb.223:
	v_lshl_add_u32 v11, v15, 3, v0
	ds_read_b64 v[13:14], v11 offset:8
	v_mov_b32_e32 v12, v10
	v_mov_b32_e32 v11, v9
; %bb.224:
	s_or_b64 exec, exec, s[0:1]
	v_add_u32_e32 v17, 1, v15
	v_add_u32_e32 v18, 1, v16
	v_cndmask_b32_e64 v19, v15, v17, s[4:5]
	v_cndmask_b32_e64 v20, v18, v16, s[4:5]
	v_cmp_lt_i32_e32 vcc, v19, v39
	s_mov_b64 s[6:7], 0
	s_and_saveexec_b64 s[8:9], vcc
	s_cbranch_execz .LBB24_230
; %bb.225:
	v_cmp_lt_i32_e32 vcc, v20, v38
	s_waitcnt lgkmcnt(0)
	v_cmp_nlt_f32_e64 s[0:1], v13, v11
	s_and_b64 s[10:11], vcc, s[0:1]
	s_mov_b64 s[6:7], -1
	s_and_saveexec_b64 s[0:1], s[10:11]
	s_cbranch_execz .LBB24_229
; %bb.226:
	v_cmp_eq_f32_e32 vcc, v13, v11
	s_mov_b64 s[6:7], 0
	s_and_saveexec_b64 s[10:11], vcc
; %bb.227:
	v_cmp_lt_f32_e32 vcc, v14, v12
	s_and_b64 s[6:7], vcc, exec
; %bb.228:
	s_or_b64 exec, exec, s[10:11]
	s_orn2_b64 s[6:7], s[6:7], exec
.LBB24_229:
	s_or_b64 exec, exec, s[0:1]
	s_and_b64 s[6:7], s[6:7], exec
.LBB24_230:
	s_or_b64 exec, exec, s[8:9]
	s_xor_b64 s[0:1], s[6:7], -1
                                        ; implicit-def: $vgpr15
	s_and_saveexec_b64 s[8:9], s[0:1]
	s_xor_b64 s[0:1], exec, s[8:9]
; %bb.231:
	v_lshl_add_u32 v15, v20, 3, v0
	ds_read_b64 v[15:16], v15 offset:8
; %bb.232:
	s_or_saveexec_b64 s[0:1], s[0:1]
	s_waitcnt lgkmcnt(0)
	v_mov_b32_e32 v17, v13
	v_mov_b32_e32 v18, v14
	s_xor_b64 exec, exec, s[0:1]
; %bb.233:
	v_lshl_add_u32 v15, v19, 3, v0
	ds_read_b64 v[17:18], v15 offset:8
	v_mov_b32_e32 v16, v12
	v_mov_b32_e32 v15, v11
; %bb.234:
	s_or_b64 exec, exec, s[0:1]
	v_add_u32_e32 v21, 1, v19
	v_add_u32_e32 v22, 1, v20
	v_cndmask_b32_e64 v23, v19, v21, s[6:7]
	v_cndmask_b32_e64 v24, v22, v20, s[6:7]
	v_cmp_lt_i32_e32 vcc, v23, v39
	s_mov_b64 s[8:9], 0
	s_and_saveexec_b64 s[10:11], vcc
	s_cbranch_execz .LBB24_240
; %bb.235:
	v_cmp_lt_i32_e32 vcc, v24, v38
	s_waitcnt lgkmcnt(0)
	v_cmp_nlt_f32_e64 s[0:1], v17, v15
	s_and_b64 s[12:13], vcc, s[0:1]
	s_mov_b64 s[8:9], -1
	s_and_saveexec_b64 s[0:1], s[12:13]
	s_cbranch_execz .LBB24_239
; %bb.236:
	v_cmp_eq_f32_e32 vcc, v17, v15
	s_mov_b64 s[8:9], 0
	s_and_saveexec_b64 s[12:13], vcc
; %bb.237:
	v_cmp_lt_f32_e32 vcc, v18, v16
	s_and_b64 s[8:9], vcc, exec
; %bb.238:
	s_or_b64 exec, exec, s[12:13]
	s_orn2_b64 s[8:9], s[8:9], exec
.LBB24_239:
	s_or_b64 exec, exec, s[0:1]
	s_and_b64 s[8:9], s[8:9], exec
.LBB24_240:
	s_or_b64 exec, exec, s[10:11]
	s_xor_b64 s[0:1], s[8:9], -1
                                        ; implicit-def: $vgpr19
	s_and_saveexec_b64 s[10:11], s[0:1]
	s_xor_b64 s[0:1], exec, s[10:11]
; %bb.241:
	v_lshl_add_u32 v19, v24, 3, v0
	ds_read_b64 v[19:20], v19 offset:8
; %bb.242:
	s_or_saveexec_b64 s[0:1], s[0:1]
	s_waitcnt lgkmcnt(0)
	v_mov_b32_e32 v21, v17
	v_mov_b32_e32 v22, v18
	s_xor_b64 exec, exec, s[0:1]
; %bb.243:
	v_lshl_add_u32 v19, v23, 3, v0
	ds_read_b64 v[21:22], v19 offset:8
	v_mov_b32_e32 v20, v16
	v_mov_b32_e32 v19, v15
; %bb.244:
	s_or_b64 exec, exec, s[0:1]
	v_add_u32_e32 v25, 1, v23
	v_add_u32_e32 v26, 1, v24
	v_cndmask_b32_e64 v27, v23, v25, s[8:9]
	v_cndmask_b32_e64 v28, v26, v24, s[8:9]
	v_cmp_lt_i32_e32 vcc, v27, v39
	s_mov_b64 s[10:11], 0
	s_and_saveexec_b64 s[12:13], vcc
	s_cbranch_execz .LBB24_250
; %bb.245:
	v_cmp_lt_i32_e32 vcc, v28, v38
	s_waitcnt lgkmcnt(0)
	v_cmp_nlt_f32_e64 s[0:1], v21, v19
	s_and_b64 s[14:15], vcc, s[0:1]
	s_mov_b64 s[10:11], -1
	s_and_saveexec_b64 s[0:1], s[14:15]
	s_cbranch_execz .LBB24_249
; %bb.246:
	v_cmp_eq_f32_e32 vcc, v21, v19
	s_mov_b64 s[10:11], 0
	s_and_saveexec_b64 s[14:15], vcc
; %bb.247:
	v_cmp_lt_f32_e32 vcc, v22, v20
	s_and_b64 s[10:11], vcc, exec
; %bb.248:
	s_or_b64 exec, exec, s[14:15]
	s_orn2_b64 s[10:11], s[10:11], exec
.LBB24_249:
	s_or_b64 exec, exec, s[0:1]
	s_and_b64 s[10:11], s[10:11], exec
.LBB24_250:
	s_or_b64 exec, exec, s[12:13]
	s_xor_b64 s[0:1], s[10:11], -1
                                        ; implicit-def: $vgpr23
	s_and_saveexec_b64 s[12:13], s[0:1]
	s_xor_b64 s[0:1], exec, s[12:13]
; %bb.251:
	v_lshl_add_u32 v23, v28, 3, v0
	ds_read_b64 v[23:24], v23 offset:8
; %bb.252:
	s_or_saveexec_b64 s[0:1], s[0:1]
	s_waitcnt lgkmcnt(0)
	v_mov_b32_e32 v25, v21
	v_mov_b32_e32 v26, v22
	s_xor_b64 exec, exec, s[0:1]
; %bb.253:
	v_lshl_add_u32 v23, v27, 3, v0
	ds_read_b64 v[25:26], v23 offset:8
	v_mov_b32_e32 v24, v20
	v_mov_b32_e32 v23, v19
; %bb.254:
	s_or_b64 exec, exec, s[0:1]
	v_add_u32_e32 v29, 1, v27
	v_add_u32_e32 v30, 1, v28
	v_cndmask_b32_e64 v31, v27, v29, s[10:11]
	v_cndmask_b32_e64 v32, v30, v28, s[10:11]
	v_cmp_lt_i32_e32 vcc, v31, v39
	s_mov_b64 s[12:13], 0
	s_and_saveexec_b64 s[14:15], vcc
	s_cbranch_execz .LBB24_260
; %bb.255:
	v_cmp_lt_i32_e32 vcc, v32, v38
	s_waitcnt lgkmcnt(0)
	v_cmp_nlt_f32_e64 s[0:1], v25, v23
	s_and_b64 s[16:17], vcc, s[0:1]
	s_mov_b64 s[12:13], -1
	s_and_saveexec_b64 s[0:1], s[16:17]
	s_cbranch_execz .LBB24_259
; %bb.256:
	v_cmp_eq_f32_e32 vcc, v25, v23
	s_mov_b64 s[12:13], 0
	s_and_saveexec_b64 s[16:17], vcc
; %bb.257:
	v_cmp_lt_f32_e32 vcc, v26, v24
	s_and_b64 s[12:13], vcc, exec
; %bb.258:
	s_or_b64 exec, exec, s[16:17]
	s_orn2_b64 s[12:13], s[12:13], exec
.LBB24_259:
	s_or_b64 exec, exec, s[0:1]
	s_and_b64 s[12:13], s[12:13], exec
.LBB24_260:
	s_or_b64 exec, exec, s[14:15]
	s_xor_b64 s[0:1], s[12:13], -1
                                        ; implicit-def: $vgpr27
	s_and_saveexec_b64 s[14:15], s[0:1]
	s_xor_b64 s[0:1], exec, s[14:15]
; %bb.261:
	v_lshl_add_u32 v27, v32, 3, v0
	ds_read_b64 v[27:28], v27 offset:8
; %bb.262:
	s_or_saveexec_b64 s[0:1], s[0:1]
	s_waitcnt lgkmcnt(0)
	v_mov_b32_e32 v29, v25
	v_mov_b32_e32 v30, v26
	s_xor_b64 exec, exec, s[0:1]
; %bb.263:
	v_lshl_add_u32 v27, v31, 3, v0
	ds_read_b64 v[29:30], v27 offset:8
	v_mov_b32_e32 v28, v24
	v_mov_b32_e32 v27, v23
; %bb.264:
	s_or_b64 exec, exec, s[0:1]
	v_add_u32_e32 v33, 1, v31
	v_add_u32_e32 v34, 1, v32
	v_cndmask_b32_e64 v41, v31, v33, s[12:13]
	v_cndmask_b32_e64 v40, v34, v32, s[12:13]
	v_cmp_lt_i32_e32 vcc, v41, v39
	s_mov_b64 s[14:15], 0
	s_and_saveexec_b64 s[16:17], vcc
	s_cbranch_execz .LBB24_270
; %bb.265:
	v_cmp_lt_i32_e32 vcc, v40, v38
	s_waitcnt lgkmcnt(0)
	v_cmp_nlt_f32_e64 s[0:1], v29, v27
	s_and_b64 s[18:19], vcc, s[0:1]
	s_mov_b64 s[14:15], -1
	s_and_saveexec_b64 s[0:1], s[18:19]
	s_cbranch_execz .LBB24_269
; %bb.266:
	v_cmp_eq_f32_e32 vcc, v29, v27
	s_mov_b64 s[14:15], 0
	s_and_saveexec_b64 s[18:19], vcc
; %bb.267:
	v_cmp_lt_f32_e32 vcc, v30, v28
	s_and_b64 s[14:15], vcc, exec
; %bb.268:
	s_or_b64 exec, exec, s[18:19]
	s_orn2_b64 s[14:15], s[14:15], exec
.LBB24_269:
	s_or_b64 exec, exec, s[0:1]
	s_and_b64 s[14:15], s[14:15], exec
.LBB24_270:
	s_or_b64 exec, exec, s[16:17]
	s_xor_b64 s[0:1], s[14:15], -1
                                        ; implicit-def: $vgpr31
	s_and_saveexec_b64 s[16:17], s[0:1]
	s_xor_b64 s[0:1], exec, s[16:17]
; %bb.271:
	v_lshl_add_u32 v31, v40, 3, v0
	ds_read_b64 v[31:32], v31 offset:8
; %bb.272:
	s_or_saveexec_b64 s[0:1], s[0:1]
	s_waitcnt lgkmcnt(0)
	v_mov_b32_e32 v33, v29
	v_mov_b32_e32 v34, v30
	s_xor_b64 exec, exec, s[0:1]
; %bb.273:
	v_lshl_add_u32 v31, v41, 3, v0
	ds_read_b64 v[33:34], v31 offset:8
	v_mov_b32_e32 v32, v28
	v_mov_b32_e32 v31, v27
; %bb.274:
	s_or_b64 exec, exec, s[0:1]
	v_add_u32_e32 v42, 1, v41
	v_cndmask_b32_e64 v41, v41, v42, s[14:15]
	v_cmp_lt_i32_e32 vcc, v41, v39
	s_mov_b64 s[0:1], 0
	s_and_saveexec_b64 s[16:17], vcc
	s_cbranch_execz .LBB24_280
; %bb.275:
	v_add_u32_e32 v39, 1, v40
	v_cndmask_b32_e64 v39, v39, v40, s[14:15]
	v_cmp_lt_i32_e32 vcc, v39, v38
	s_waitcnt lgkmcnt(0)
	v_cmp_nlt_f32_e64 s[0:1], v33, v31
	s_and_b64 s[20:21], vcc, s[0:1]
	s_mov_b64 s[18:19], -1
	s_and_saveexec_b64 s[0:1], s[20:21]
	s_cbranch_execz .LBB24_279
; %bb.276:
	v_cmp_eq_f32_e32 vcc, v33, v31
	s_mov_b64 s[18:19], 0
	s_and_saveexec_b64 s[20:21], vcc
; %bb.277:
	v_cmp_lt_f32_e32 vcc, v34, v32
	s_and_b64 s[18:19], vcc, exec
; %bb.278:
	s_or_b64 exec, exec, s[20:21]
	s_orn2_b64 s[18:19], s[18:19], exec
.LBB24_279:
	s_or_b64 exec, exec, s[0:1]
	s_and_b64 s[0:1], s[18:19], exec
.LBB24_280:
	s_or_b64 exec, exec, s[16:17]
	v_cndmask_b32_e64 v11, v11, v13, s[6:7]
	v_cndmask_b32_e64 v7, v9, v7, s[4:5]
	;; [unrolled: 1-line block ×14, first 2 shown]
	s_waitcnt lgkmcnt(0)
	v_cndmask_b32_e64 v5, v31, v33, s[0:1]
	v_cndmask_b32_e64 v6, v32, v34, s[0:1]
	; wave barrier
	ds_write2_b64 v36, v[3:4], v[7:8] offset1:1
	ds_write2_b64 v36, v[11:12], v[15:16] offset0:2 offset1:3
	ds_write2_b64 v36, v[19:20], v[23:24] offset0:4 offset1:5
	;; [unrolled: 1-line block ×3, first 2 shown]
	v_and_b32_e32 v11, 0xc0, v37
	v_or_b32_e32 v38, 32, v11
	v_and_b32_e32 v7, 56, v37
	v_sub_u32_e32 v4, v38, v11
	v_sub_u32_e64 v12, v7, 32 clamp
	v_min_i32_e32 v4, v7, v4
	v_lshl_add_u32 v3, v11, 3, v0
	v_cmp_lt_i32_e32 vcc, v12, v4
	; wave barrier
	s_and_saveexec_b64 s[0:1], vcc
	s_cbranch_execz .LBB24_288
; %bb.281:
	v_lshl_add_u32 v5, v7, 3, v3
	s_mov_b64 s[2:3], 0
                                        ; implicit-def: $sgpr4_sgpr5
	s_branch .LBB24_284
.LBB24_282:                             ;   in Loop: Header=BB24_284 Depth=1
	s_or_b64 exec, exec, s[10:11]
	s_andn2_b64 s[4:5], s[4:5], exec
	s_and_b64 s[8:9], s[8:9], exec
	s_or_b64 s[4:5], s[4:5], s[8:9]
.LBB24_283:                             ;   in Loop: Header=BB24_284 Depth=1
	s_or_b64 exec, exec, s[6:7]
	v_add_u32_e32 v8, 1, v6
	v_cndmask_b32_e64 v4, v4, v6, s[4:5]
	v_cndmask_b32_e64 v12, v8, v12, s[4:5]
	v_cmp_ge_i32_e32 vcc, v12, v4
	s_or_b64 s[2:3], vcc, s[2:3]
	s_andn2_b64 exec, exec, s[2:3]
	s_cbranch_execz .LBB24_287
.LBB24_284:                             ; =>This Inner Loop Header: Depth=1
	v_sub_u32_e32 v6, v4, v12
	v_lshrrev_b32_e32 v6, 1, v6
	v_add_u32_e32 v6, v6, v12
	v_lshl_add_u32 v8, v6, 3, v3
	v_not_b32_e32 v9, v6
	v_lshl_add_u32 v9, v9, 3, v5
	ds_read_b32 v10, v8
	ds_read_b32 v13, v9 offset:256
	s_or_b64 s[4:5], s[4:5], exec
	s_waitcnt lgkmcnt(0)
	v_cmp_nlt_f32_e32 vcc, v13, v10
	s_and_saveexec_b64 s[6:7], vcc
	s_cbranch_execz .LBB24_283
; %bb.285:                              ;   in Loop: Header=BB24_284 Depth=1
	v_cmp_eq_f32_e32 vcc, v13, v10
	s_mov_b64 s[8:9], 0
	s_and_saveexec_b64 s[10:11], vcc
	s_cbranch_execz .LBB24_282
; %bb.286:                              ;   in Loop: Header=BB24_284 Depth=1
	ds_read_b32 v9, v9 offset:260
	ds_read_b32 v8, v8 offset:4
	s_waitcnt lgkmcnt(0)
	v_cmp_lt_f32_e32 vcc, v9, v8
	s_and_b64 s[8:9], vcc, exec
	s_branch .LBB24_282
.LBB24_287:
	s_or_b64 exec, exec, s[2:3]
.LBB24_288:
	s_or_b64 exec, exec, s[0:1]
	v_lshl_add_u32 v10, v12, 3, v3
	v_add_u32_e32 v3, v11, v7
	v_sub_u32_e32 v3, v3, v12
	v_lshl_add_u32 v14, v3, 3, v0
	ds_read_b64 v[3:4], v14 offset:256
	ds_read_b64 v[5:6], v10
	v_add_u32_e32 v7, v38, v7
	v_add_u32_e32 v39, 64, v11
	v_sub_u32_e32 v13, v7, v12
	s_waitcnt lgkmcnt(1)
	v_mov_b32_e32 v7, v3
	v_mov_b32_e32 v8, v4
	v_cmp_gt_i32_e32 vcc, v39, v13
	s_mov_b64 s[2:3], 0
	s_and_saveexec_b64 s[4:5], vcc
	s_cbranch_execz .LBB24_294
; %bb.289:
	v_cmp_gt_i32_e32 vcc, 32, v12
	s_waitcnt lgkmcnt(0)
	v_cmp_nlt_f32_e64 s[0:1], v3, v5
	s_and_b64 s[6:7], vcc, s[0:1]
	s_mov_b64 s[2:3], -1
	s_and_saveexec_b64 s[0:1], s[6:7]
	s_cbranch_execz .LBB24_293
; %bb.290:
	v_cmp_eq_f32_e32 vcc, v3, v5
	s_mov_b64 s[2:3], 0
	s_and_saveexec_b64 s[6:7], vcc
; %bb.291:
	v_cmp_lt_f32_e32 vcc, v4, v6
	s_and_b64 s[2:3], vcc, exec
; %bb.292:
	s_or_b64 exec, exec, s[6:7]
	s_orn2_b64 s[2:3], s[2:3], exec
.LBB24_293:
	s_or_b64 exec, exec, s[0:1]
	s_and_b64 s[2:3], s[2:3], exec
.LBB24_294:
	s_or_b64 exec, exec, s[4:5]
	s_xor_b64 s[0:1], s[2:3], -1
                                        ; implicit-def: $vgpr9
	s_and_saveexec_b64 s[4:5], s[0:1]
	s_xor_b64 s[0:1], exec, s[4:5]
; %bb.295:
	ds_read_b64 v[9:10], v10 offset:8
                                        ; implicit-def: $vgpr14
; %bb.296:
	s_andn2_saveexec_b64 s[0:1], s[0:1]
	s_cbranch_execz .LBB24_298
; %bb.297:
	ds_read_b64 v[7:8], v14 offset:264
	s_waitcnt lgkmcnt(1)
	v_mov_b32_e32 v10, v6
	v_mov_b32_e32 v9, v5
.LBB24_298:
	s_or_b64 exec, exec, s[0:1]
	v_add_u32_e32 v11, v12, v11
	v_add_u32_e32 v12, 1, v13
	;; [unrolled: 1-line block ×3, first 2 shown]
	v_cndmask_b32_e64 v15, v13, v12, s[2:3]
	v_cndmask_b32_e64 v16, v14, v11, s[2:3]
	v_cmp_lt_i32_e32 vcc, v15, v39
	s_mov_b64 s[4:5], 0
	s_and_saveexec_b64 s[6:7], vcc
	s_cbranch_execz .LBB24_304
; %bb.299:
	v_cmp_lt_i32_e32 vcc, v16, v38
	s_waitcnt lgkmcnt(0)
	v_cmp_nlt_f32_e64 s[0:1], v7, v9
	s_and_b64 s[8:9], vcc, s[0:1]
	s_mov_b64 s[4:5], -1
	s_and_saveexec_b64 s[0:1], s[8:9]
	s_cbranch_execz .LBB24_303
; %bb.300:
	v_cmp_eq_f32_e32 vcc, v7, v9
	s_mov_b64 s[4:5], 0
	s_and_saveexec_b64 s[8:9], vcc
; %bb.301:
	v_cmp_lt_f32_e32 vcc, v8, v10
	s_and_b64 s[4:5], vcc, exec
; %bb.302:
	s_or_b64 exec, exec, s[8:9]
	s_orn2_b64 s[4:5], s[4:5], exec
.LBB24_303:
	s_or_b64 exec, exec, s[0:1]
	s_and_b64 s[4:5], s[4:5], exec
.LBB24_304:
	s_or_b64 exec, exec, s[6:7]
	s_xor_b64 s[0:1], s[4:5], -1
                                        ; implicit-def: $vgpr11
	s_and_saveexec_b64 s[6:7], s[0:1]
	s_xor_b64 s[0:1], exec, s[6:7]
; %bb.305:
	v_lshl_add_u32 v11, v16, 3, v0
	ds_read_b64 v[11:12], v11 offset:8
; %bb.306:
	s_or_saveexec_b64 s[0:1], s[0:1]
	s_waitcnt lgkmcnt(0)
	v_mov_b32_e32 v13, v7
	v_mov_b32_e32 v14, v8
	s_xor_b64 exec, exec, s[0:1]
; %bb.307:
	v_lshl_add_u32 v11, v15, 3, v0
	ds_read_b64 v[13:14], v11 offset:8
	v_mov_b32_e32 v12, v10
	v_mov_b32_e32 v11, v9
; %bb.308:
	s_or_b64 exec, exec, s[0:1]
	v_add_u32_e32 v17, 1, v15
	v_add_u32_e32 v18, 1, v16
	v_cndmask_b32_e64 v19, v15, v17, s[4:5]
	v_cndmask_b32_e64 v20, v18, v16, s[4:5]
	v_cmp_lt_i32_e32 vcc, v19, v39
	s_mov_b64 s[6:7], 0
	s_and_saveexec_b64 s[8:9], vcc
	s_cbranch_execz .LBB24_314
; %bb.309:
	v_cmp_lt_i32_e32 vcc, v20, v38
	s_waitcnt lgkmcnt(0)
	v_cmp_nlt_f32_e64 s[0:1], v13, v11
	s_and_b64 s[10:11], vcc, s[0:1]
	s_mov_b64 s[6:7], -1
	s_and_saveexec_b64 s[0:1], s[10:11]
	s_cbranch_execz .LBB24_313
; %bb.310:
	v_cmp_eq_f32_e32 vcc, v13, v11
	s_mov_b64 s[6:7], 0
	s_and_saveexec_b64 s[10:11], vcc
; %bb.311:
	v_cmp_lt_f32_e32 vcc, v14, v12
	s_and_b64 s[6:7], vcc, exec
; %bb.312:
	s_or_b64 exec, exec, s[10:11]
	s_orn2_b64 s[6:7], s[6:7], exec
.LBB24_313:
	s_or_b64 exec, exec, s[0:1]
	s_and_b64 s[6:7], s[6:7], exec
.LBB24_314:
	s_or_b64 exec, exec, s[8:9]
	s_xor_b64 s[0:1], s[6:7], -1
                                        ; implicit-def: $vgpr15
	s_and_saveexec_b64 s[8:9], s[0:1]
	s_xor_b64 s[0:1], exec, s[8:9]
; %bb.315:
	v_lshl_add_u32 v15, v20, 3, v0
	ds_read_b64 v[15:16], v15 offset:8
; %bb.316:
	s_or_saveexec_b64 s[0:1], s[0:1]
	s_waitcnt lgkmcnt(0)
	v_mov_b32_e32 v17, v13
	v_mov_b32_e32 v18, v14
	s_xor_b64 exec, exec, s[0:1]
; %bb.317:
	v_lshl_add_u32 v15, v19, 3, v0
	ds_read_b64 v[17:18], v15 offset:8
	v_mov_b32_e32 v16, v12
	v_mov_b32_e32 v15, v11
; %bb.318:
	s_or_b64 exec, exec, s[0:1]
	v_add_u32_e32 v21, 1, v19
	v_add_u32_e32 v22, 1, v20
	v_cndmask_b32_e64 v23, v19, v21, s[6:7]
	v_cndmask_b32_e64 v24, v22, v20, s[6:7]
	v_cmp_lt_i32_e32 vcc, v23, v39
	s_mov_b64 s[8:9], 0
	s_and_saveexec_b64 s[10:11], vcc
	s_cbranch_execz .LBB24_324
; %bb.319:
	v_cmp_lt_i32_e32 vcc, v24, v38
	s_waitcnt lgkmcnt(0)
	v_cmp_nlt_f32_e64 s[0:1], v17, v15
	s_and_b64 s[12:13], vcc, s[0:1]
	s_mov_b64 s[8:9], -1
	s_and_saveexec_b64 s[0:1], s[12:13]
	s_cbranch_execz .LBB24_323
; %bb.320:
	v_cmp_eq_f32_e32 vcc, v17, v15
	s_mov_b64 s[8:9], 0
	s_and_saveexec_b64 s[12:13], vcc
; %bb.321:
	v_cmp_lt_f32_e32 vcc, v18, v16
	s_and_b64 s[8:9], vcc, exec
; %bb.322:
	s_or_b64 exec, exec, s[12:13]
	s_orn2_b64 s[8:9], s[8:9], exec
.LBB24_323:
	s_or_b64 exec, exec, s[0:1]
	s_and_b64 s[8:9], s[8:9], exec
.LBB24_324:
	s_or_b64 exec, exec, s[10:11]
	s_xor_b64 s[0:1], s[8:9], -1
                                        ; implicit-def: $vgpr19
	s_and_saveexec_b64 s[10:11], s[0:1]
	s_xor_b64 s[0:1], exec, s[10:11]
; %bb.325:
	v_lshl_add_u32 v19, v24, 3, v0
	ds_read_b64 v[19:20], v19 offset:8
; %bb.326:
	s_or_saveexec_b64 s[0:1], s[0:1]
	s_waitcnt lgkmcnt(0)
	v_mov_b32_e32 v21, v17
	v_mov_b32_e32 v22, v18
	s_xor_b64 exec, exec, s[0:1]
; %bb.327:
	v_lshl_add_u32 v19, v23, 3, v0
	ds_read_b64 v[21:22], v19 offset:8
	v_mov_b32_e32 v20, v16
	v_mov_b32_e32 v19, v15
; %bb.328:
	s_or_b64 exec, exec, s[0:1]
	v_add_u32_e32 v25, 1, v23
	v_add_u32_e32 v26, 1, v24
	v_cndmask_b32_e64 v27, v23, v25, s[8:9]
	v_cndmask_b32_e64 v28, v26, v24, s[8:9]
	v_cmp_lt_i32_e32 vcc, v27, v39
	s_mov_b64 s[10:11], 0
	s_and_saveexec_b64 s[12:13], vcc
	s_cbranch_execz .LBB24_334
; %bb.329:
	v_cmp_lt_i32_e32 vcc, v28, v38
	s_waitcnt lgkmcnt(0)
	v_cmp_nlt_f32_e64 s[0:1], v21, v19
	s_and_b64 s[14:15], vcc, s[0:1]
	s_mov_b64 s[10:11], -1
	s_and_saveexec_b64 s[0:1], s[14:15]
	s_cbranch_execz .LBB24_333
; %bb.330:
	v_cmp_eq_f32_e32 vcc, v21, v19
	s_mov_b64 s[10:11], 0
	s_and_saveexec_b64 s[14:15], vcc
; %bb.331:
	v_cmp_lt_f32_e32 vcc, v22, v20
	s_and_b64 s[10:11], vcc, exec
; %bb.332:
	s_or_b64 exec, exec, s[14:15]
	s_orn2_b64 s[10:11], s[10:11], exec
.LBB24_333:
	s_or_b64 exec, exec, s[0:1]
	s_and_b64 s[10:11], s[10:11], exec
.LBB24_334:
	s_or_b64 exec, exec, s[12:13]
	s_xor_b64 s[0:1], s[10:11], -1
                                        ; implicit-def: $vgpr23
	s_and_saveexec_b64 s[12:13], s[0:1]
	s_xor_b64 s[0:1], exec, s[12:13]
; %bb.335:
	v_lshl_add_u32 v23, v28, 3, v0
	ds_read_b64 v[23:24], v23 offset:8
; %bb.336:
	s_or_saveexec_b64 s[0:1], s[0:1]
	s_waitcnt lgkmcnt(0)
	v_mov_b32_e32 v25, v21
	v_mov_b32_e32 v26, v22
	s_xor_b64 exec, exec, s[0:1]
; %bb.337:
	v_lshl_add_u32 v23, v27, 3, v0
	ds_read_b64 v[25:26], v23 offset:8
	v_mov_b32_e32 v24, v20
	v_mov_b32_e32 v23, v19
; %bb.338:
	s_or_b64 exec, exec, s[0:1]
	v_add_u32_e32 v29, 1, v27
	v_add_u32_e32 v30, 1, v28
	v_cndmask_b32_e64 v31, v27, v29, s[10:11]
	v_cndmask_b32_e64 v32, v30, v28, s[10:11]
	v_cmp_lt_i32_e32 vcc, v31, v39
	s_mov_b64 s[12:13], 0
	s_and_saveexec_b64 s[14:15], vcc
	s_cbranch_execz .LBB24_344
; %bb.339:
	v_cmp_lt_i32_e32 vcc, v32, v38
	s_waitcnt lgkmcnt(0)
	v_cmp_nlt_f32_e64 s[0:1], v25, v23
	s_and_b64 s[16:17], vcc, s[0:1]
	s_mov_b64 s[12:13], -1
	s_and_saveexec_b64 s[0:1], s[16:17]
	s_cbranch_execz .LBB24_343
; %bb.340:
	v_cmp_eq_f32_e32 vcc, v25, v23
	s_mov_b64 s[12:13], 0
	s_and_saveexec_b64 s[16:17], vcc
; %bb.341:
	v_cmp_lt_f32_e32 vcc, v26, v24
	s_and_b64 s[12:13], vcc, exec
; %bb.342:
	s_or_b64 exec, exec, s[16:17]
	s_orn2_b64 s[12:13], s[12:13], exec
.LBB24_343:
	s_or_b64 exec, exec, s[0:1]
	s_and_b64 s[12:13], s[12:13], exec
.LBB24_344:
	s_or_b64 exec, exec, s[14:15]
	s_xor_b64 s[0:1], s[12:13], -1
                                        ; implicit-def: $vgpr27
	s_and_saveexec_b64 s[14:15], s[0:1]
	s_xor_b64 s[0:1], exec, s[14:15]
; %bb.345:
	v_lshl_add_u32 v27, v32, 3, v0
	ds_read_b64 v[27:28], v27 offset:8
; %bb.346:
	s_or_saveexec_b64 s[0:1], s[0:1]
	s_waitcnt lgkmcnt(0)
	v_mov_b32_e32 v29, v25
	v_mov_b32_e32 v30, v26
	s_xor_b64 exec, exec, s[0:1]
; %bb.347:
	v_lshl_add_u32 v27, v31, 3, v0
	ds_read_b64 v[29:30], v27 offset:8
	v_mov_b32_e32 v28, v24
	v_mov_b32_e32 v27, v23
; %bb.348:
	s_or_b64 exec, exec, s[0:1]
	v_add_u32_e32 v33, 1, v31
	v_add_u32_e32 v34, 1, v32
	v_cndmask_b32_e64 v41, v31, v33, s[12:13]
	v_cndmask_b32_e64 v40, v34, v32, s[12:13]
	v_cmp_lt_i32_e32 vcc, v41, v39
	s_mov_b64 s[14:15], 0
	s_and_saveexec_b64 s[16:17], vcc
	s_cbranch_execz .LBB24_354
; %bb.349:
	v_cmp_lt_i32_e32 vcc, v40, v38
	s_waitcnt lgkmcnt(0)
	v_cmp_nlt_f32_e64 s[0:1], v29, v27
	s_and_b64 s[18:19], vcc, s[0:1]
	s_mov_b64 s[14:15], -1
	s_and_saveexec_b64 s[0:1], s[18:19]
	s_cbranch_execz .LBB24_353
; %bb.350:
	v_cmp_eq_f32_e32 vcc, v29, v27
	s_mov_b64 s[14:15], 0
	s_and_saveexec_b64 s[18:19], vcc
; %bb.351:
	v_cmp_lt_f32_e32 vcc, v30, v28
	s_and_b64 s[14:15], vcc, exec
; %bb.352:
	s_or_b64 exec, exec, s[18:19]
	s_orn2_b64 s[14:15], s[14:15], exec
.LBB24_353:
	s_or_b64 exec, exec, s[0:1]
	s_and_b64 s[14:15], s[14:15], exec
.LBB24_354:
	s_or_b64 exec, exec, s[16:17]
	s_xor_b64 s[0:1], s[14:15], -1
                                        ; implicit-def: $vgpr31
	s_and_saveexec_b64 s[16:17], s[0:1]
	s_xor_b64 s[0:1], exec, s[16:17]
; %bb.355:
	v_lshl_add_u32 v31, v40, 3, v0
	ds_read_b64 v[31:32], v31 offset:8
; %bb.356:
	s_or_saveexec_b64 s[0:1], s[0:1]
	s_waitcnt lgkmcnt(0)
	v_mov_b32_e32 v33, v29
	v_mov_b32_e32 v34, v30
	s_xor_b64 exec, exec, s[0:1]
; %bb.357:
	v_lshl_add_u32 v31, v41, 3, v0
	ds_read_b64 v[33:34], v31 offset:8
	v_mov_b32_e32 v32, v28
	v_mov_b32_e32 v31, v27
; %bb.358:
	s_or_b64 exec, exec, s[0:1]
	v_add_u32_e32 v42, 1, v41
	v_cndmask_b32_e64 v41, v41, v42, s[14:15]
	v_cmp_lt_i32_e32 vcc, v41, v39
	s_mov_b64 s[0:1], 0
	s_and_saveexec_b64 s[16:17], vcc
	s_cbranch_execz .LBB24_364
; %bb.359:
	v_add_u32_e32 v39, 1, v40
	v_cndmask_b32_e64 v39, v39, v40, s[14:15]
	v_cmp_lt_i32_e32 vcc, v39, v38
	s_waitcnt lgkmcnt(0)
	v_cmp_nlt_f32_e64 s[0:1], v33, v31
	s_and_b64 s[20:21], vcc, s[0:1]
	s_mov_b64 s[18:19], -1
	s_and_saveexec_b64 s[0:1], s[20:21]
	s_cbranch_execz .LBB24_363
; %bb.360:
	v_cmp_eq_f32_e32 vcc, v33, v31
	s_mov_b64 s[18:19], 0
	s_and_saveexec_b64 s[20:21], vcc
; %bb.361:
	v_cmp_lt_f32_e32 vcc, v34, v32
	s_and_b64 s[18:19], vcc, exec
; %bb.362:
	s_or_b64 exec, exec, s[20:21]
	s_orn2_b64 s[18:19], s[18:19], exec
.LBB24_363:
	s_or_b64 exec, exec, s[0:1]
	s_and_b64 s[0:1], s[18:19], exec
.LBB24_364:
	s_or_b64 exec, exec, s[16:17]
	v_cndmask_b32_e64 v11, v11, v13, s[6:7]
	v_cndmask_b32_e64 v7, v9, v7, s[4:5]
	;; [unrolled: 1-line block ×14, first 2 shown]
	s_waitcnt lgkmcnt(0)
	v_cndmask_b32_e64 v5, v31, v33, s[0:1]
	v_cndmask_b32_e64 v6, v32, v34, s[0:1]
	; wave barrier
	ds_write2_b64 v36, v[3:4], v[7:8] offset1:1
	ds_write2_b64 v36, v[11:12], v[15:16] offset0:2 offset1:3
	ds_write2_b64 v36, v[19:20], v[23:24] offset0:4 offset1:5
	;; [unrolled: 1-line block ×3, first 2 shown]
	v_and_b32_e32 v11, 0x80, v37
	v_and_b32_e32 v7, 0x78, v37
	v_or_b32_e32 v37, 64, v11
	v_sub_u32_e32 v4, v37, v11
	v_sub_u32_e64 v12, v7, 64 clamp
	v_min_i32_e32 v4, v7, v4
	v_lshl_add_u32 v3, v11, 3, v0
	v_cmp_lt_i32_e32 vcc, v12, v4
	; wave barrier
	s_and_saveexec_b64 s[0:1], vcc
	s_cbranch_execz .LBB24_372
; %bb.365:
	v_lshl_add_u32 v5, v7, 3, v3
	s_mov_b64 s[2:3], 0
                                        ; implicit-def: $sgpr4_sgpr5
	s_branch .LBB24_368
.LBB24_366:                             ;   in Loop: Header=BB24_368 Depth=1
	s_or_b64 exec, exec, s[10:11]
	s_andn2_b64 s[4:5], s[4:5], exec
	s_and_b64 s[8:9], s[8:9], exec
	s_or_b64 s[4:5], s[4:5], s[8:9]
.LBB24_367:                             ;   in Loop: Header=BB24_368 Depth=1
	s_or_b64 exec, exec, s[6:7]
	v_add_u32_e32 v8, 1, v6
	v_cndmask_b32_e64 v4, v4, v6, s[4:5]
	v_cndmask_b32_e64 v12, v8, v12, s[4:5]
	v_cmp_ge_i32_e32 vcc, v12, v4
	s_or_b64 s[2:3], vcc, s[2:3]
	s_andn2_b64 exec, exec, s[2:3]
	s_cbranch_execz .LBB24_371
.LBB24_368:                             ; =>This Inner Loop Header: Depth=1
	v_sub_u32_e32 v6, v4, v12
	v_lshrrev_b32_e32 v6, 1, v6
	v_add_u32_e32 v6, v6, v12
	v_lshl_add_u32 v8, v6, 3, v3
	v_not_b32_e32 v9, v6
	v_lshl_add_u32 v9, v9, 3, v5
	ds_read_b32 v10, v8
	ds_read_b32 v13, v9 offset:512
	s_or_b64 s[4:5], s[4:5], exec
	s_waitcnt lgkmcnt(0)
	v_cmp_nlt_f32_e32 vcc, v13, v10
	s_and_saveexec_b64 s[6:7], vcc
	s_cbranch_execz .LBB24_367
; %bb.369:                              ;   in Loop: Header=BB24_368 Depth=1
	v_cmp_eq_f32_e32 vcc, v13, v10
	s_mov_b64 s[8:9], 0
	s_and_saveexec_b64 s[10:11], vcc
	s_cbranch_execz .LBB24_366
; %bb.370:                              ;   in Loop: Header=BB24_368 Depth=1
	ds_read_b32 v9, v9 offset:516
	ds_read_b32 v8, v8 offset:4
	s_waitcnt lgkmcnt(0)
	v_cmp_lt_f32_e32 vcc, v9, v8
	s_and_b64 s[8:9], vcc, exec
	s_branch .LBB24_366
.LBB24_371:
	s_or_b64 exec, exec, s[2:3]
.LBB24_372:
	s_or_b64 exec, exec, s[0:1]
	v_lshl_add_u32 v10, v12, 3, v3
	v_add_u32_e32 v3, v11, v7
	v_sub_u32_e32 v3, v3, v12
	v_lshl_add_u32 v14, v3, 3, v0
	ds_read_b64 v[3:4], v14 offset:512
	ds_read_b64 v[5:6], v10
	v_add_u32_e32 v7, v37, v7
	v_add_u32_e32 v38, 0x80, v11
	v_sub_u32_e32 v13, v7, v12
	s_waitcnt lgkmcnt(1)
	v_mov_b32_e32 v7, v3
	v_mov_b32_e32 v8, v4
	v_cmp_gt_i32_e32 vcc, v38, v13
	s_mov_b64 s[2:3], 0
	s_and_saveexec_b64 s[4:5], vcc
	s_cbranch_execz .LBB24_378
; %bb.373:
	v_cmp_gt_i32_e32 vcc, 64, v12
	s_waitcnt lgkmcnt(0)
	v_cmp_nlt_f32_e64 s[0:1], v3, v5
	s_and_b64 s[6:7], vcc, s[0:1]
	s_mov_b64 s[2:3], -1
	s_and_saveexec_b64 s[0:1], s[6:7]
	s_cbranch_execz .LBB24_377
; %bb.374:
	v_cmp_eq_f32_e32 vcc, v3, v5
	s_mov_b64 s[2:3], 0
	s_and_saveexec_b64 s[6:7], vcc
; %bb.375:
	v_cmp_lt_f32_e32 vcc, v4, v6
	s_and_b64 s[2:3], vcc, exec
; %bb.376:
	s_or_b64 exec, exec, s[6:7]
	s_orn2_b64 s[2:3], s[2:3], exec
.LBB24_377:
	s_or_b64 exec, exec, s[0:1]
	s_and_b64 s[2:3], s[2:3], exec
.LBB24_378:
	s_or_b64 exec, exec, s[4:5]
	s_xor_b64 s[0:1], s[2:3], -1
                                        ; implicit-def: $vgpr9
	s_and_saveexec_b64 s[4:5], s[0:1]
	s_xor_b64 s[0:1], exec, s[4:5]
; %bb.379:
	ds_read_b64 v[9:10], v10 offset:8
                                        ; implicit-def: $vgpr14
; %bb.380:
	s_andn2_saveexec_b64 s[0:1], s[0:1]
	s_cbranch_execz .LBB24_382
; %bb.381:
	ds_read_b64 v[7:8], v14 offset:520
	s_waitcnt lgkmcnt(1)
	v_mov_b32_e32 v10, v6
	v_mov_b32_e32 v9, v5
.LBB24_382:
	s_or_b64 exec, exec, s[0:1]
	v_add_u32_e32 v11, v12, v11
	v_add_u32_e32 v12, 1, v13
	v_add_u32_e32 v14, 1, v11
	v_cndmask_b32_e64 v15, v13, v12, s[2:3]
	v_cndmask_b32_e64 v16, v14, v11, s[2:3]
	v_cmp_lt_i32_e32 vcc, v15, v38
	s_mov_b64 s[4:5], 0
	s_and_saveexec_b64 s[6:7], vcc
	s_cbranch_execz .LBB24_388
; %bb.383:
	v_cmp_lt_i32_e32 vcc, v16, v37
	s_waitcnt lgkmcnt(0)
	v_cmp_nlt_f32_e64 s[0:1], v7, v9
	s_and_b64 s[8:9], vcc, s[0:1]
	s_mov_b64 s[4:5], -1
	s_and_saveexec_b64 s[0:1], s[8:9]
	s_cbranch_execz .LBB24_387
; %bb.384:
	v_cmp_eq_f32_e32 vcc, v7, v9
	s_mov_b64 s[4:5], 0
	s_and_saveexec_b64 s[8:9], vcc
; %bb.385:
	v_cmp_lt_f32_e32 vcc, v8, v10
	s_and_b64 s[4:5], vcc, exec
; %bb.386:
	s_or_b64 exec, exec, s[8:9]
	s_orn2_b64 s[4:5], s[4:5], exec
.LBB24_387:
	s_or_b64 exec, exec, s[0:1]
	s_and_b64 s[4:5], s[4:5], exec
.LBB24_388:
	s_or_b64 exec, exec, s[6:7]
	s_xor_b64 s[0:1], s[4:5], -1
                                        ; implicit-def: $vgpr11
	s_and_saveexec_b64 s[6:7], s[0:1]
	s_xor_b64 s[0:1], exec, s[6:7]
; %bb.389:
	v_lshl_add_u32 v11, v16, 3, v0
	ds_read_b64 v[11:12], v11 offset:8
; %bb.390:
	s_or_saveexec_b64 s[0:1], s[0:1]
	s_waitcnt lgkmcnt(0)
	v_mov_b32_e32 v13, v7
	v_mov_b32_e32 v14, v8
	s_xor_b64 exec, exec, s[0:1]
; %bb.391:
	v_lshl_add_u32 v11, v15, 3, v0
	ds_read_b64 v[13:14], v11 offset:8
	v_mov_b32_e32 v12, v10
	v_mov_b32_e32 v11, v9
; %bb.392:
	s_or_b64 exec, exec, s[0:1]
	v_add_u32_e32 v17, 1, v15
	v_add_u32_e32 v18, 1, v16
	v_cndmask_b32_e64 v19, v15, v17, s[4:5]
	v_cndmask_b32_e64 v20, v18, v16, s[4:5]
	v_cmp_lt_i32_e32 vcc, v19, v38
	s_mov_b64 s[6:7], 0
	s_and_saveexec_b64 s[8:9], vcc
	s_cbranch_execz .LBB24_398
; %bb.393:
	v_cmp_lt_i32_e32 vcc, v20, v37
	s_waitcnt lgkmcnt(0)
	v_cmp_nlt_f32_e64 s[0:1], v13, v11
	s_and_b64 s[10:11], vcc, s[0:1]
	s_mov_b64 s[6:7], -1
	s_and_saveexec_b64 s[0:1], s[10:11]
	s_cbranch_execz .LBB24_397
; %bb.394:
	v_cmp_eq_f32_e32 vcc, v13, v11
	s_mov_b64 s[6:7], 0
	s_and_saveexec_b64 s[10:11], vcc
; %bb.395:
	v_cmp_lt_f32_e32 vcc, v14, v12
	s_and_b64 s[6:7], vcc, exec
; %bb.396:
	s_or_b64 exec, exec, s[10:11]
	s_orn2_b64 s[6:7], s[6:7], exec
.LBB24_397:
	s_or_b64 exec, exec, s[0:1]
	s_and_b64 s[6:7], s[6:7], exec
.LBB24_398:
	s_or_b64 exec, exec, s[8:9]
	s_xor_b64 s[0:1], s[6:7], -1
                                        ; implicit-def: $vgpr15
	s_and_saveexec_b64 s[8:9], s[0:1]
	s_xor_b64 s[0:1], exec, s[8:9]
; %bb.399:
	v_lshl_add_u32 v15, v20, 3, v0
	ds_read_b64 v[15:16], v15 offset:8
; %bb.400:
	s_or_saveexec_b64 s[0:1], s[0:1]
	s_waitcnt lgkmcnt(0)
	v_mov_b32_e32 v17, v13
	v_mov_b32_e32 v18, v14
	s_xor_b64 exec, exec, s[0:1]
; %bb.401:
	v_lshl_add_u32 v15, v19, 3, v0
	ds_read_b64 v[17:18], v15 offset:8
	v_mov_b32_e32 v16, v12
	v_mov_b32_e32 v15, v11
; %bb.402:
	s_or_b64 exec, exec, s[0:1]
	v_add_u32_e32 v21, 1, v19
	v_add_u32_e32 v22, 1, v20
	v_cndmask_b32_e64 v23, v19, v21, s[6:7]
	v_cndmask_b32_e64 v24, v22, v20, s[6:7]
	v_cmp_lt_i32_e32 vcc, v23, v38
	s_mov_b64 s[8:9], 0
	s_and_saveexec_b64 s[10:11], vcc
	s_cbranch_execz .LBB24_408
; %bb.403:
	v_cmp_lt_i32_e32 vcc, v24, v37
	s_waitcnt lgkmcnt(0)
	v_cmp_nlt_f32_e64 s[0:1], v17, v15
	s_and_b64 s[12:13], vcc, s[0:1]
	s_mov_b64 s[8:9], -1
	s_and_saveexec_b64 s[0:1], s[12:13]
	s_cbranch_execz .LBB24_407
; %bb.404:
	v_cmp_eq_f32_e32 vcc, v17, v15
	s_mov_b64 s[8:9], 0
	s_and_saveexec_b64 s[12:13], vcc
; %bb.405:
	v_cmp_lt_f32_e32 vcc, v18, v16
	s_and_b64 s[8:9], vcc, exec
; %bb.406:
	s_or_b64 exec, exec, s[12:13]
	s_orn2_b64 s[8:9], s[8:9], exec
.LBB24_407:
	s_or_b64 exec, exec, s[0:1]
	s_and_b64 s[8:9], s[8:9], exec
.LBB24_408:
	s_or_b64 exec, exec, s[10:11]
	s_xor_b64 s[0:1], s[8:9], -1
                                        ; implicit-def: $vgpr19
	s_and_saveexec_b64 s[10:11], s[0:1]
	s_xor_b64 s[0:1], exec, s[10:11]
; %bb.409:
	v_lshl_add_u32 v19, v24, 3, v0
	ds_read_b64 v[19:20], v19 offset:8
; %bb.410:
	s_or_saveexec_b64 s[0:1], s[0:1]
	s_waitcnt lgkmcnt(0)
	v_mov_b32_e32 v21, v17
	v_mov_b32_e32 v22, v18
	s_xor_b64 exec, exec, s[0:1]
; %bb.411:
	v_lshl_add_u32 v19, v23, 3, v0
	ds_read_b64 v[21:22], v19 offset:8
	v_mov_b32_e32 v20, v16
	v_mov_b32_e32 v19, v15
; %bb.412:
	s_or_b64 exec, exec, s[0:1]
	v_add_u32_e32 v25, 1, v23
	v_add_u32_e32 v26, 1, v24
	v_cndmask_b32_e64 v27, v23, v25, s[8:9]
	v_cndmask_b32_e64 v28, v26, v24, s[8:9]
	v_cmp_lt_i32_e32 vcc, v27, v38
	s_mov_b64 s[10:11], 0
	s_and_saveexec_b64 s[12:13], vcc
	s_cbranch_execz .LBB24_418
; %bb.413:
	v_cmp_lt_i32_e32 vcc, v28, v37
	s_waitcnt lgkmcnt(0)
	v_cmp_nlt_f32_e64 s[0:1], v21, v19
	s_and_b64 s[14:15], vcc, s[0:1]
	s_mov_b64 s[10:11], -1
	s_and_saveexec_b64 s[0:1], s[14:15]
	s_cbranch_execz .LBB24_417
; %bb.414:
	v_cmp_eq_f32_e32 vcc, v21, v19
	s_mov_b64 s[10:11], 0
	s_and_saveexec_b64 s[14:15], vcc
; %bb.415:
	v_cmp_lt_f32_e32 vcc, v22, v20
	s_and_b64 s[10:11], vcc, exec
; %bb.416:
	s_or_b64 exec, exec, s[14:15]
	s_orn2_b64 s[10:11], s[10:11], exec
.LBB24_417:
	s_or_b64 exec, exec, s[0:1]
	s_and_b64 s[10:11], s[10:11], exec
.LBB24_418:
	s_or_b64 exec, exec, s[12:13]
	s_xor_b64 s[0:1], s[10:11], -1
                                        ; implicit-def: $vgpr23
	s_and_saveexec_b64 s[12:13], s[0:1]
	s_xor_b64 s[0:1], exec, s[12:13]
; %bb.419:
	v_lshl_add_u32 v23, v28, 3, v0
	ds_read_b64 v[23:24], v23 offset:8
; %bb.420:
	s_or_saveexec_b64 s[0:1], s[0:1]
	s_waitcnt lgkmcnt(0)
	v_mov_b32_e32 v25, v21
	v_mov_b32_e32 v26, v22
	s_xor_b64 exec, exec, s[0:1]
; %bb.421:
	v_lshl_add_u32 v23, v27, 3, v0
	ds_read_b64 v[25:26], v23 offset:8
	v_mov_b32_e32 v24, v20
	v_mov_b32_e32 v23, v19
; %bb.422:
	s_or_b64 exec, exec, s[0:1]
	v_add_u32_e32 v29, 1, v27
	v_add_u32_e32 v30, 1, v28
	v_cndmask_b32_e64 v31, v27, v29, s[10:11]
	v_cndmask_b32_e64 v32, v30, v28, s[10:11]
	v_cmp_lt_i32_e32 vcc, v31, v38
	s_mov_b64 s[12:13], 0
	s_and_saveexec_b64 s[14:15], vcc
	s_cbranch_execz .LBB24_428
; %bb.423:
	v_cmp_lt_i32_e32 vcc, v32, v37
	s_waitcnt lgkmcnt(0)
	v_cmp_nlt_f32_e64 s[0:1], v25, v23
	s_and_b64 s[16:17], vcc, s[0:1]
	s_mov_b64 s[12:13], -1
	s_and_saveexec_b64 s[0:1], s[16:17]
	s_cbranch_execz .LBB24_427
; %bb.424:
	v_cmp_eq_f32_e32 vcc, v25, v23
	s_mov_b64 s[12:13], 0
	s_and_saveexec_b64 s[16:17], vcc
; %bb.425:
	v_cmp_lt_f32_e32 vcc, v26, v24
	s_and_b64 s[12:13], vcc, exec
; %bb.426:
	s_or_b64 exec, exec, s[16:17]
	s_orn2_b64 s[12:13], s[12:13], exec
.LBB24_427:
	s_or_b64 exec, exec, s[0:1]
	s_and_b64 s[12:13], s[12:13], exec
.LBB24_428:
	s_or_b64 exec, exec, s[14:15]
	s_xor_b64 s[0:1], s[12:13], -1
                                        ; implicit-def: $vgpr27
	s_and_saveexec_b64 s[14:15], s[0:1]
	s_xor_b64 s[0:1], exec, s[14:15]
; %bb.429:
	v_lshl_add_u32 v27, v32, 3, v0
	ds_read_b64 v[27:28], v27 offset:8
; %bb.430:
	s_or_saveexec_b64 s[0:1], s[0:1]
	s_waitcnt lgkmcnt(0)
	v_mov_b32_e32 v29, v25
	v_mov_b32_e32 v30, v26
	s_xor_b64 exec, exec, s[0:1]
; %bb.431:
	v_lshl_add_u32 v27, v31, 3, v0
	ds_read_b64 v[29:30], v27 offset:8
	v_mov_b32_e32 v28, v24
	v_mov_b32_e32 v27, v23
; %bb.432:
	s_or_b64 exec, exec, s[0:1]
	v_add_u32_e32 v33, 1, v31
	v_add_u32_e32 v34, 1, v32
	v_cndmask_b32_e64 v40, v31, v33, s[12:13]
	v_cndmask_b32_e64 v39, v34, v32, s[12:13]
	v_cmp_lt_i32_e32 vcc, v40, v38
	s_mov_b64 s[14:15], 0
	s_and_saveexec_b64 s[16:17], vcc
	s_cbranch_execz .LBB24_438
; %bb.433:
	v_cmp_lt_i32_e32 vcc, v39, v37
	s_waitcnt lgkmcnt(0)
	v_cmp_nlt_f32_e64 s[0:1], v29, v27
	s_and_b64 s[18:19], vcc, s[0:1]
	s_mov_b64 s[14:15], -1
	s_and_saveexec_b64 s[0:1], s[18:19]
	s_cbranch_execz .LBB24_437
; %bb.434:
	v_cmp_eq_f32_e32 vcc, v29, v27
	s_mov_b64 s[14:15], 0
	s_and_saveexec_b64 s[18:19], vcc
; %bb.435:
	v_cmp_lt_f32_e32 vcc, v30, v28
	s_and_b64 s[14:15], vcc, exec
; %bb.436:
	s_or_b64 exec, exec, s[18:19]
	s_orn2_b64 s[14:15], s[14:15], exec
.LBB24_437:
	s_or_b64 exec, exec, s[0:1]
	s_and_b64 s[14:15], s[14:15], exec
.LBB24_438:
	s_or_b64 exec, exec, s[16:17]
	s_xor_b64 s[0:1], s[14:15], -1
                                        ; implicit-def: $vgpr31
	s_and_saveexec_b64 s[16:17], s[0:1]
	s_xor_b64 s[0:1], exec, s[16:17]
; %bb.439:
	v_lshl_add_u32 v31, v39, 3, v0
	ds_read_b64 v[31:32], v31 offset:8
; %bb.440:
	s_or_saveexec_b64 s[0:1], s[0:1]
	s_waitcnt lgkmcnt(0)
	v_mov_b32_e32 v33, v29
	v_mov_b32_e32 v34, v30
	s_xor_b64 exec, exec, s[0:1]
; %bb.441:
	v_lshl_add_u32 v31, v40, 3, v0
	ds_read_b64 v[33:34], v31 offset:8
	v_mov_b32_e32 v32, v28
	v_mov_b32_e32 v31, v27
; %bb.442:
	s_or_b64 exec, exec, s[0:1]
	v_add_u32_e32 v41, 1, v40
	v_cndmask_b32_e64 v40, v40, v41, s[14:15]
	v_cmp_lt_i32_e32 vcc, v40, v38
	s_mov_b64 s[0:1], 0
	s_and_saveexec_b64 s[16:17], vcc
	s_cbranch_execz .LBB24_448
; %bb.443:
	v_add_u32_e32 v38, 1, v39
	v_cndmask_b32_e64 v38, v38, v39, s[14:15]
	v_cmp_lt_i32_e32 vcc, v38, v37
	s_waitcnt lgkmcnt(0)
	v_cmp_nlt_f32_e64 s[0:1], v33, v31
	s_and_b64 s[20:21], vcc, s[0:1]
	s_mov_b64 s[18:19], -1
	s_and_saveexec_b64 s[0:1], s[20:21]
	s_cbranch_execz .LBB24_447
; %bb.444:
	v_cmp_eq_f32_e32 vcc, v33, v31
	s_mov_b64 s[18:19], 0
	s_and_saveexec_b64 s[20:21], vcc
; %bb.445:
	v_cmp_lt_f32_e32 vcc, v34, v32
	s_and_b64 s[18:19], vcc, exec
; %bb.446:
	s_or_b64 exec, exec, s[20:21]
	s_orn2_b64 s[18:19], s[18:19], exec
.LBB24_447:
	s_or_b64 exec, exec, s[0:1]
	s_and_b64 s[0:1], s[18:19], exec
.LBB24_448:
	s_or_b64 exec, exec, s[16:17]
	v_cndmask_b32_e64 v11, v11, v13, s[6:7]
	v_cndmask_b32_e64 v7, v9, v7, s[4:5]
	;; [unrolled: 1-line block ×5, first 2 shown]
	s_waitcnt lgkmcnt(0)
	v_cndmask_b32_e64 v5, v31, v33, s[0:1]
	v_cndmask_b32_e64 v6, v32, v34, s[0:1]
	s_movk_i32 s0, 0x80
	v_cndmask_b32_e64 v27, v27, v29, s[14:15]
	v_cndmask_b32_e64 v28, v28, v30, s[14:15]
	;; [unrolled: 1-line block ×9, first 2 shown]
	; wave barrier
	ds_write2_b64 v36, v[3:4], v[7:8] offset1:1
	ds_write2_b64 v36, v[11:12], v[15:16] offset0:2 offset1:3
	ds_write2_b64 v36, v[19:20], v[23:24] offset0:4 offset1:5
	;; [unrolled: 1-line block ×3, first 2 shown]
	v_sub_u32_e64 v11, v35, s0 clamp
	v_min_i32_e32 v3, 0x80, v35
	v_cmp_lt_u32_e32 vcc, v11, v3
	; wave barrier
	s_and_saveexec_b64 s[0:1], vcc
	s_cbranch_execz .LBB24_456
; %bb.449:
	s_mov_b64 s[2:3], 0
                                        ; implicit-def: $sgpr4_sgpr5
	s_branch .LBB24_452
.LBB24_450:                             ;   in Loop: Header=BB24_452 Depth=1
	s_or_b64 exec, exec, s[10:11]
	s_andn2_b64 s[4:5], s[4:5], exec
	s_and_b64 s[8:9], s[8:9], exec
	s_or_b64 s[4:5], s[4:5], s[8:9]
.LBB24_451:                             ;   in Loop: Header=BB24_452 Depth=1
	s_or_b64 exec, exec, s[6:7]
	v_add_u32_e32 v5, 1, v4
	v_cndmask_b32_e64 v3, v3, v4, s[4:5]
	v_cndmask_b32_e64 v11, v5, v11, s[4:5]
	v_cmp_ge_i32_e32 vcc, v11, v3
	s_or_b64 s[2:3], vcc, s[2:3]
	s_andn2_b64 exec, exec, s[2:3]
	s_cbranch_execz .LBB24_455
.LBB24_452:                             ; =>This Inner Loop Header: Depth=1
	v_sub_u32_e32 v4, v3, v11
	v_lshrrev_b32_e32 v4, 1, v4
	v_add_u32_e32 v4, v4, v11
	v_lshl_add_u32 v5, v4, 3, v0
	v_not_b32_e32 v6, v4
	v_lshl_add_u32 v6, v6, 3, v36
	ds_read_b32 v7, v5
	ds_read_b32 v8, v6 offset:1024
	s_or_b64 s[4:5], s[4:5], exec
	s_waitcnt lgkmcnt(0)
	v_cmp_nlt_f32_e32 vcc, v8, v7
	s_and_saveexec_b64 s[6:7], vcc
	s_cbranch_execz .LBB24_451
; %bb.453:                              ;   in Loop: Header=BB24_452 Depth=1
	v_cmp_eq_f32_e32 vcc, v8, v7
	s_mov_b64 s[8:9], 0
	s_and_saveexec_b64 s[10:11], vcc
	s_cbranch_execz .LBB24_450
; %bb.454:                              ;   in Loop: Header=BB24_452 Depth=1
	ds_read_b32 v6, v6 offset:1028
	ds_read_b32 v5, v5 offset:4
	s_waitcnt lgkmcnt(0)
	v_cmp_lt_f32_e32 vcc, v6, v5
	s_and_b64 s[8:9], vcc, exec
	s_branch .LBB24_450
.LBB24_455:
	s_or_b64 exec, exec, s[2:3]
.LBB24_456:
	s_or_b64 exec, exec, s[0:1]
	v_sub_u32_e32 v7, v35, v11
	v_lshl_add_u32 v13, v7, 3, v0
	ds_read_b64 v[3:4], v13 offset:1024
	v_lshl_add_u32 v10, v11, 3, v0
	ds_read_b64 v[5:6], v10
	v_add_u32_e32 v12, 0x80, v7
	s_movk_i32 s1, 0x100
	s_movk_i32 s0, 0x80
	s_waitcnt lgkmcnt(1)
	v_mov_b32_e32 v7, v3
	v_mov_b32_e32 v8, v4
	v_cmp_gt_i32_e32 vcc, s1, v12
	s_mov_b64 s[2:3], 0
	s_and_saveexec_b64 s[4:5], vcc
	s_cbranch_execz .LBB24_462
; %bb.457:
	v_cmp_gt_i32_e32 vcc, s0, v11
	s_waitcnt lgkmcnt(0)
	v_cmp_nlt_f32_e64 s[0:1], v3, v5
	s_and_b64 s[6:7], vcc, s[0:1]
	s_mov_b64 s[2:3], -1
	s_and_saveexec_b64 s[0:1], s[6:7]
	s_cbranch_execz .LBB24_461
; %bb.458:
	v_cmp_eq_f32_e32 vcc, v3, v5
	s_mov_b64 s[2:3], 0
	s_and_saveexec_b64 s[6:7], vcc
; %bb.459:
	v_cmp_lt_f32_e32 vcc, v4, v6
	s_and_b64 s[2:3], vcc, exec
; %bb.460:
	s_or_b64 exec, exec, s[6:7]
	s_orn2_b64 s[2:3], s[2:3], exec
.LBB24_461:
	s_or_b64 exec, exec, s[0:1]
	s_and_b64 s[2:3], s[2:3], exec
.LBB24_462:
	s_or_b64 exec, exec, s[4:5]
	s_xor_b64 s[0:1], s[2:3], -1
                                        ; implicit-def: $vgpr9
	s_and_saveexec_b64 s[4:5], s[0:1]
	s_xor_b64 s[0:1], exec, s[4:5]
; %bb.463:
	ds_read_b64 v[9:10], v10 offset:8
                                        ; implicit-def: $vgpr13
; %bb.464:
	s_andn2_saveexec_b64 s[0:1], s[0:1]
	s_cbranch_execz .LBB24_466
; %bb.465:
	ds_read_b64 v[7:8], v13 offset:1032
	s_waitcnt lgkmcnt(1)
	v_mov_b32_e32 v10, v6
	v_mov_b32_e32 v9, v5
.LBB24_466:
	s_or_b64 exec, exec, s[0:1]
	v_add_u32_e32 v13, 1, v12
	v_add_u32_e32 v14, 1, v11
	v_cndmask_b32_e64 v15, v12, v13, s[2:3]
	s_movk_i32 s0, 0x100
	v_cndmask_b32_e64 v16, v14, v11, s[2:3]
	v_cmp_gt_i32_e32 vcc, s0, v15
	s_mov_b64 s[4:5], 0
	s_and_saveexec_b64 s[6:7], vcc
	s_cbranch_execz .LBB24_472
; %bb.467:
	s_movk_i32 s0, 0x80
	v_cmp_gt_i32_e32 vcc, s0, v16
	s_waitcnt lgkmcnt(0)
	v_cmp_nlt_f32_e64 s[0:1], v7, v9
	s_and_b64 s[8:9], vcc, s[0:1]
	s_mov_b64 s[4:5], -1
	s_and_saveexec_b64 s[0:1], s[8:9]
	s_cbranch_execz .LBB24_471
; %bb.468:
	v_cmp_eq_f32_e32 vcc, v7, v9
	s_mov_b64 s[4:5], 0
	s_and_saveexec_b64 s[8:9], vcc
; %bb.469:
	v_cmp_lt_f32_e32 vcc, v8, v10
	s_and_b64 s[4:5], vcc, exec
; %bb.470:
	s_or_b64 exec, exec, s[8:9]
	s_orn2_b64 s[4:5], s[4:5], exec
.LBB24_471:
	s_or_b64 exec, exec, s[0:1]
	s_and_b64 s[4:5], s[4:5], exec
.LBB24_472:
	s_or_b64 exec, exec, s[6:7]
	s_xor_b64 s[0:1], s[4:5], -1
                                        ; implicit-def: $vgpr11
	s_and_saveexec_b64 s[6:7], s[0:1]
	s_xor_b64 s[0:1], exec, s[6:7]
; %bb.473:
	v_lshl_add_u32 v11, v16, 3, v0
	ds_read_b64 v[11:12], v11 offset:8
; %bb.474:
	s_or_saveexec_b64 s[0:1], s[0:1]
	s_waitcnt lgkmcnt(0)
	v_mov_b32_e32 v13, v7
	v_mov_b32_e32 v14, v8
	s_xor_b64 exec, exec, s[0:1]
; %bb.475:
	v_lshl_add_u32 v11, v15, 3, v0
	ds_read_b64 v[13:14], v11 offset:8
	v_mov_b32_e32 v12, v10
	v_mov_b32_e32 v11, v9
; %bb.476:
	s_or_b64 exec, exec, s[0:1]
	v_add_u32_e32 v17, 1, v15
	v_add_u32_e32 v18, 1, v16
	v_cndmask_b32_e64 v19, v15, v17, s[4:5]
	s_movk_i32 s0, 0x100
	v_cndmask_b32_e64 v20, v18, v16, s[4:5]
	v_cmp_gt_i32_e32 vcc, s0, v19
	s_mov_b64 s[6:7], 0
	s_and_saveexec_b64 s[8:9], vcc
	s_cbranch_execz .LBB24_482
; %bb.477:
	s_movk_i32 s0, 0x80
	v_cmp_gt_i32_e32 vcc, s0, v20
	s_waitcnt lgkmcnt(0)
	v_cmp_nlt_f32_e64 s[0:1], v13, v11
	s_and_b64 s[10:11], vcc, s[0:1]
	s_mov_b64 s[6:7], -1
	s_and_saveexec_b64 s[0:1], s[10:11]
	s_cbranch_execz .LBB24_481
; %bb.478:
	v_cmp_eq_f32_e32 vcc, v13, v11
	s_mov_b64 s[6:7], 0
	s_and_saveexec_b64 s[10:11], vcc
; %bb.479:
	v_cmp_lt_f32_e32 vcc, v14, v12
	s_and_b64 s[6:7], vcc, exec
; %bb.480:
	s_or_b64 exec, exec, s[10:11]
	s_orn2_b64 s[6:7], s[6:7], exec
.LBB24_481:
	s_or_b64 exec, exec, s[0:1]
	s_and_b64 s[6:7], s[6:7], exec
.LBB24_482:
	s_or_b64 exec, exec, s[8:9]
	s_xor_b64 s[0:1], s[6:7], -1
                                        ; implicit-def: $vgpr15
	s_and_saveexec_b64 s[8:9], s[0:1]
	s_xor_b64 s[0:1], exec, s[8:9]
; %bb.483:
	v_lshl_add_u32 v15, v20, 3, v0
	ds_read_b64 v[15:16], v15 offset:8
; %bb.484:
	s_or_saveexec_b64 s[0:1], s[0:1]
	s_waitcnt lgkmcnt(0)
	v_mov_b32_e32 v17, v13
	v_mov_b32_e32 v18, v14
	s_xor_b64 exec, exec, s[0:1]
; %bb.485:
	v_lshl_add_u32 v15, v19, 3, v0
	ds_read_b64 v[17:18], v15 offset:8
	v_mov_b32_e32 v16, v12
	v_mov_b32_e32 v15, v11
; %bb.486:
	s_or_b64 exec, exec, s[0:1]
	v_add_u32_e32 v21, 1, v19
	v_add_u32_e32 v22, 1, v20
	v_cndmask_b32_e64 v23, v19, v21, s[6:7]
	s_movk_i32 s0, 0x100
	v_cndmask_b32_e64 v24, v22, v20, s[6:7]
	v_cmp_gt_i32_e32 vcc, s0, v23
	s_mov_b64 s[8:9], 0
	s_and_saveexec_b64 s[10:11], vcc
	s_cbranch_execz .LBB24_492
; %bb.487:
	s_movk_i32 s0, 0x80
	v_cmp_gt_i32_e32 vcc, s0, v24
	s_waitcnt lgkmcnt(0)
	v_cmp_nlt_f32_e64 s[0:1], v17, v15
	s_and_b64 s[12:13], vcc, s[0:1]
	s_mov_b64 s[8:9], -1
	s_and_saveexec_b64 s[0:1], s[12:13]
	s_cbranch_execz .LBB24_491
; %bb.488:
	v_cmp_eq_f32_e32 vcc, v17, v15
	s_mov_b64 s[8:9], 0
	s_and_saveexec_b64 s[12:13], vcc
; %bb.489:
	v_cmp_lt_f32_e32 vcc, v18, v16
	s_and_b64 s[8:9], vcc, exec
; %bb.490:
	s_or_b64 exec, exec, s[12:13]
	s_orn2_b64 s[8:9], s[8:9], exec
.LBB24_491:
	s_or_b64 exec, exec, s[0:1]
	s_and_b64 s[8:9], s[8:9], exec
.LBB24_492:
	s_or_b64 exec, exec, s[10:11]
	s_xor_b64 s[0:1], s[8:9], -1
                                        ; implicit-def: $vgpr19
	s_and_saveexec_b64 s[10:11], s[0:1]
	s_xor_b64 s[0:1], exec, s[10:11]
; %bb.493:
	v_lshl_add_u32 v19, v24, 3, v0
	ds_read_b64 v[19:20], v19 offset:8
; %bb.494:
	s_or_saveexec_b64 s[0:1], s[0:1]
	s_waitcnt lgkmcnt(0)
	v_mov_b32_e32 v21, v17
	v_mov_b32_e32 v22, v18
	s_xor_b64 exec, exec, s[0:1]
; %bb.495:
	v_lshl_add_u32 v19, v23, 3, v0
	ds_read_b64 v[21:22], v19 offset:8
	v_mov_b32_e32 v20, v16
	v_mov_b32_e32 v19, v15
; %bb.496:
	s_or_b64 exec, exec, s[0:1]
	v_add_u32_e32 v25, 1, v23
	v_add_u32_e32 v26, 1, v24
	v_cndmask_b32_e64 v27, v23, v25, s[8:9]
	s_movk_i32 s0, 0x100
	v_cndmask_b32_e64 v28, v26, v24, s[8:9]
	v_cmp_gt_i32_e32 vcc, s0, v27
	s_mov_b64 s[10:11], 0
	s_and_saveexec_b64 s[12:13], vcc
	s_cbranch_execz .LBB24_502
; %bb.497:
	s_movk_i32 s0, 0x80
	v_cmp_gt_i32_e32 vcc, s0, v28
	s_waitcnt lgkmcnt(0)
	v_cmp_nlt_f32_e64 s[0:1], v21, v19
	s_and_b64 s[14:15], vcc, s[0:1]
	s_mov_b64 s[10:11], -1
	s_and_saveexec_b64 s[0:1], s[14:15]
	s_cbranch_execz .LBB24_501
; %bb.498:
	v_cmp_eq_f32_e32 vcc, v21, v19
	s_mov_b64 s[10:11], 0
	s_and_saveexec_b64 s[14:15], vcc
; %bb.499:
	v_cmp_lt_f32_e32 vcc, v22, v20
	s_and_b64 s[10:11], vcc, exec
; %bb.500:
	s_or_b64 exec, exec, s[14:15]
	s_orn2_b64 s[10:11], s[10:11], exec
.LBB24_501:
	s_or_b64 exec, exec, s[0:1]
	s_and_b64 s[10:11], s[10:11], exec
.LBB24_502:
	s_or_b64 exec, exec, s[12:13]
	s_xor_b64 s[0:1], s[10:11], -1
                                        ; implicit-def: $vgpr23
	s_and_saveexec_b64 s[12:13], s[0:1]
	s_xor_b64 s[0:1], exec, s[12:13]
; %bb.503:
	v_lshl_add_u32 v23, v28, 3, v0
	ds_read_b64 v[23:24], v23 offset:8
; %bb.504:
	s_or_saveexec_b64 s[0:1], s[0:1]
	s_waitcnt lgkmcnt(0)
	v_mov_b32_e32 v25, v21
	v_mov_b32_e32 v26, v22
	s_xor_b64 exec, exec, s[0:1]
; %bb.505:
	v_lshl_add_u32 v23, v27, 3, v0
	ds_read_b64 v[25:26], v23 offset:8
	v_mov_b32_e32 v24, v20
	v_mov_b32_e32 v23, v19
; %bb.506:
	s_or_b64 exec, exec, s[0:1]
	v_add_u32_e32 v29, 1, v27
	v_add_u32_e32 v30, 1, v28
	v_cndmask_b32_e64 v31, v27, v29, s[10:11]
	s_movk_i32 s0, 0x100
	v_cndmask_b32_e64 v32, v30, v28, s[10:11]
	v_cmp_gt_i32_e32 vcc, s0, v31
	s_mov_b64 s[12:13], 0
	s_and_saveexec_b64 s[14:15], vcc
	s_cbranch_execz .LBB24_512
; %bb.507:
	s_movk_i32 s0, 0x80
	v_cmp_gt_i32_e32 vcc, s0, v32
	s_waitcnt lgkmcnt(0)
	v_cmp_nlt_f32_e64 s[0:1], v25, v23
	s_and_b64 s[16:17], vcc, s[0:1]
	s_mov_b64 s[12:13], -1
	s_and_saveexec_b64 s[0:1], s[16:17]
	s_cbranch_execz .LBB24_511
; %bb.508:
	v_cmp_eq_f32_e32 vcc, v25, v23
	s_mov_b64 s[12:13], 0
	s_and_saveexec_b64 s[16:17], vcc
; %bb.509:
	v_cmp_lt_f32_e32 vcc, v26, v24
	s_and_b64 s[12:13], vcc, exec
; %bb.510:
	s_or_b64 exec, exec, s[16:17]
	s_orn2_b64 s[12:13], s[12:13], exec
.LBB24_511:
	s_or_b64 exec, exec, s[0:1]
	s_and_b64 s[12:13], s[12:13], exec
.LBB24_512:
	s_or_b64 exec, exec, s[14:15]
	s_xor_b64 s[0:1], s[12:13], -1
                                        ; implicit-def: $vgpr27
	s_and_saveexec_b64 s[14:15], s[0:1]
	s_xor_b64 s[0:1], exec, s[14:15]
; %bb.513:
	v_lshl_add_u32 v27, v32, 3, v0
	ds_read_b64 v[27:28], v27 offset:8
; %bb.514:
	s_or_saveexec_b64 s[0:1], s[0:1]
	s_waitcnt lgkmcnt(0)
	v_mov_b32_e32 v29, v25
	v_mov_b32_e32 v30, v26
	s_xor_b64 exec, exec, s[0:1]
; %bb.515:
	v_lshl_add_u32 v27, v31, 3, v0
	ds_read_b64 v[29:30], v27 offset:8
	v_mov_b32_e32 v28, v24
	v_mov_b32_e32 v27, v23
; %bb.516:
	s_or_b64 exec, exec, s[0:1]
	v_add_u32_e32 v33, 1, v31
	v_add_u32_e32 v34, 1, v32
	v_cndmask_b32_e64 v36, v31, v33, s[12:13]
	s_movk_i32 s0, 0x100
	v_cndmask_b32_e64 v35, v34, v32, s[12:13]
	v_cmp_gt_i32_e32 vcc, s0, v36
	s_mov_b64 s[14:15], 0
	s_and_saveexec_b64 s[16:17], vcc
	s_cbranch_execz .LBB24_522
; %bb.517:
	s_movk_i32 s0, 0x80
	v_cmp_gt_i32_e32 vcc, s0, v35
	s_waitcnt lgkmcnt(0)
	v_cmp_nlt_f32_e64 s[0:1], v29, v27
	s_and_b64 s[18:19], vcc, s[0:1]
	s_mov_b64 s[14:15], -1
	s_and_saveexec_b64 s[0:1], s[18:19]
	s_cbranch_execz .LBB24_521
; %bb.518:
	v_cmp_eq_f32_e32 vcc, v29, v27
	s_mov_b64 s[14:15], 0
	s_and_saveexec_b64 s[18:19], vcc
; %bb.519:
	v_cmp_lt_f32_e32 vcc, v30, v28
	s_and_b64 s[14:15], vcc, exec
; %bb.520:
	s_or_b64 exec, exec, s[18:19]
	s_orn2_b64 s[14:15], s[14:15], exec
.LBB24_521:
	s_or_b64 exec, exec, s[0:1]
	s_and_b64 s[14:15], s[14:15], exec
.LBB24_522:
	s_or_b64 exec, exec, s[16:17]
	s_xor_b64 s[0:1], s[14:15], -1
                                        ; implicit-def: $vgpr31
	s_and_saveexec_b64 s[16:17], s[0:1]
	s_xor_b64 s[0:1], exec, s[16:17]
; %bb.523:
	v_lshl_add_u32 v0, v35, 3, v0
	ds_read_b64 v[31:32], v0 offset:8
                                        ; implicit-def: $vgpr0
; %bb.524:
	s_or_saveexec_b64 s[0:1], s[0:1]
	s_waitcnt lgkmcnt(0)
	v_mov_b32_e32 v33, v29
	v_mov_b32_e32 v34, v30
	s_xor_b64 exec, exec, s[0:1]
; %bb.525:
	v_lshl_add_u32 v0, v36, 3, v0
	ds_read_b64 v[33:34], v0 offset:8
	v_mov_b32_e32 v32, v28
	v_mov_b32_e32 v31, v27
; %bb.526:
	s_or_b64 exec, exec, s[0:1]
	v_add_u32_e32 v0, 1, v36
	v_cndmask_b32_e64 v0, v36, v0, s[14:15]
	s_movk_i32 s0, 0x100
	v_cmp_gt_i32_e32 vcc, s0, v0
	s_mov_b64 s[0:1], 0
	s_and_saveexec_b64 s[16:17], vcc
	s_cbranch_execz .LBB24_532
; %bb.527:
	v_add_u32_e32 v0, 1, v35
	v_cndmask_b32_e64 v0, v0, v35, s[14:15]
	s_movk_i32 s0, 0x80
	v_cmp_gt_i32_e32 vcc, s0, v0
	s_waitcnt lgkmcnt(0)
	v_cmp_nlt_f32_e64 s[0:1], v33, v31
	s_and_b64 s[20:21], vcc, s[0:1]
	s_mov_b64 s[18:19], -1
	s_and_saveexec_b64 s[0:1], s[20:21]
	s_cbranch_execz .LBB24_531
; %bb.528:
	v_cmp_eq_f32_e32 vcc, v33, v31
	s_mov_b64 s[18:19], 0
	s_and_saveexec_b64 s[20:21], vcc
; %bb.529:
	v_cmp_lt_f32_e32 vcc, v34, v32
	s_and_b64 s[18:19], vcc, exec
; %bb.530:
	s_or_b64 exec, exec, s[20:21]
	s_orn2_b64 s[18:19], s[18:19], exec
.LBB24_531:
	s_or_b64 exec, exec, s[0:1]
	s_and_b64 s[0:1], s[18:19], exec
.LBB24_532:
	s_or_b64 exec, exec, s[16:17]
	v_cndmask_b32_e64 v8, v10, v8, s[4:5]
	v_cndmask_b32_e64 v7, v9, v7, s[4:5]
	;; [unrolled: 1-line block ×14, first 2 shown]
	s_waitcnt lgkmcnt(0)
	v_cndmask_b32_e64 v29, v31, v33, s[0:1]
	v_cndmask_b32_e64 v30, v32, v34, s[0:1]
	global_store_dwordx4 v[1:2], v[5:8], off
	global_store_dwordx4 v[1:2], v[13:16], off offset:16
	global_store_dwordx4 v[1:2], v[21:24], off offset:32
	;; [unrolled: 1-line block ×3, first 2 shown]
	s_endpgm
	.section	.rodata,"a",@progbits
	.p2align	6, 0x0
	.amdhsa_kernel _Z14sort_keys_fullILj256ELj32ELj8ELb0EN10test_utils16custom_test_typeIfEENS0_4lessEEvPT3_T4_
		.amdhsa_group_segment_fixed_size 16448
		.amdhsa_private_segment_fixed_size 0
		.amdhsa_kernarg_size 12
		.amdhsa_user_sgpr_count 6
		.amdhsa_user_sgpr_private_segment_buffer 1
		.amdhsa_user_sgpr_dispatch_ptr 0
		.amdhsa_user_sgpr_queue_ptr 0
		.amdhsa_user_sgpr_kernarg_segment_ptr 1
		.amdhsa_user_sgpr_dispatch_id 0
		.amdhsa_user_sgpr_flat_scratch_init 0
		.amdhsa_user_sgpr_private_segment_size 0
		.amdhsa_uses_dynamic_stack 0
		.amdhsa_system_sgpr_private_segment_wavefront_offset 0
		.amdhsa_system_sgpr_workgroup_id_x 1
		.amdhsa_system_sgpr_workgroup_id_y 0
		.amdhsa_system_sgpr_workgroup_id_z 0
		.amdhsa_system_sgpr_workgroup_info 0
		.amdhsa_system_vgpr_workitem_id 0
		.amdhsa_next_free_vgpr 65
		.amdhsa_next_free_sgpr 98
		.amdhsa_reserve_vcc 1
		.amdhsa_reserve_flat_scratch 0
		.amdhsa_float_round_mode_32 0
		.amdhsa_float_round_mode_16_64 0
		.amdhsa_float_denorm_mode_32 3
		.amdhsa_float_denorm_mode_16_64 3
		.amdhsa_dx10_clamp 1
		.amdhsa_ieee_mode 1
		.amdhsa_fp16_overflow 0
		.amdhsa_exception_fp_ieee_invalid_op 0
		.amdhsa_exception_fp_denorm_src 0
		.amdhsa_exception_fp_ieee_div_zero 0
		.amdhsa_exception_fp_ieee_overflow 0
		.amdhsa_exception_fp_ieee_underflow 0
		.amdhsa_exception_fp_ieee_inexact 0
		.amdhsa_exception_int_div_zero 0
	.end_amdhsa_kernel
	.section	.text._Z14sort_keys_fullILj256ELj32ELj8ELb0EN10test_utils16custom_test_typeIfEENS0_4lessEEvPT3_T4_,"axG",@progbits,_Z14sort_keys_fullILj256ELj32ELj8ELb0EN10test_utils16custom_test_typeIfEENS0_4lessEEvPT3_T4_,comdat
.Lfunc_end24:
	.size	_Z14sort_keys_fullILj256ELj32ELj8ELb0EN10test_utils16custom_test_typeIfEENS0_4lessEEvPT3_T4_, .Lfunc_end24-_Z14sort_keys_fullILj256ELj32ELj8ELb0EN10test_utils16custom_test_typeIfEENS0_4lessEEvPT3_T4_
                                        ; -- End function
	.set _Z14sort_keys_fullILj256ELj32ELj8ELb0EN10test_utils16custom_test_typeIfEENS0_4lessEEvPT3_T4_.num_vgpr, 43
	.set _Z14sort_keys_fullILj256ELj32ELj8ELb0EN10test_utils16custom_test_typeIfEENS0_4lessEEvPT3_T4_.num_agpr, 0
	.set _Z14sort_keys_fullILj256ELj32ELj8ELb0EN10test_utils16custom_test_typeIfEENS0_4lessEEvPT3_T4_.numbered_sgpr, 22
	.set _Z14sort_keys_fullILj256ELj32ELj8ELb0EN10test_utils16custom_test_typeIfEENS0_4lessEEvPT3_T4_.num_named_barrier, 0
	.set _Z14sort_keys_fullILj256ELj32ELj8ELb0EN10test_utils16custom_test_typeIfEENS0_4lessEEvPT3_T4_.private_seg_size, 0
	.set _Z14sort_keys_fullILj256ELj32ELj8ELb0EN10test_utils16custom_test_typeIfEENS0_4lessEEvPT3_T4_.uses_vcc, 1
	.set _Z14sort_keys_fullILj256ELj32ELj8ELb0EN10test_utils16custom_test_typeIfEENS0_4lessEEvPT3_T4_.uses_flat_scratch, 0
	.set _Z14sort_keys_fullILj256ELj32ELj8ELb0EN10test_utils16custom_test_typeIfEENS0_4lessEEvPT3_T4_.has_dyn_sized_stack, 0
	.set _Z14sort_keys_fullILj256ELj32ELj8ELb0EN10test_utils16custom_test_typeIfEENS0_4lessEEvPT3_T4_.has_recursion, 0
	.set _Z14sort_keys_fullILj256ELj32ELj8ELb0EN10test_utils16custom_test_typeIfEENS0_4lessEEvPT3_T4_.has_indirect_call, 0
	.section	.AMDGPU.csdata,"",@progbits
; Kernel info:
; codeLenInByte = 11748
; TotalNumSgprs: 26
; NumVgprs: 43
; ScratchSize: 0
; MemoryBound: 1
; FloatMode: 240
; IeeeMode: 1
; LDSByteSize: 16448 bytes/workgroup (compile time only)
; SGPRBlocks: 12
; VGPRBlocks: 16
; NumSGPRsForWavesPerEU: 102
; NumVGPRsForWavesPerEU: 65
; Occupancy: 3
; WaveLimiterHint : 0
; COMPUTE_PGM_RSRC2:SCRATCH_EN: 0
; COMPUTE_PGM_RSRC2:USER_SGPR: 6
; COMPUTE_PGM_RSRC2:TRAP_HANDLER: 0
; COMPUTE_PGM_RSRC2:TGID_X_EN: 1
; COMPUTE_PGM_RSRC2:TGID_Y_EN: 0
; COMPUTE_PGM_RSRC2:TGID_Z_EN: 0
; COMPUTE_PGM_RSRC2:TIDIG_COMP_CNT: 0
	.section	.text._Z14sort_keys_fullILj256ELj32ELj4ELb0EN10test_utils16custom_test_typeIfEENS0_4lessEEvPT3_T4_,"axG",@progbits,_Z14sort_keys_fullILj256ELj32ELj4ELb0EN10test_utils16custom_test_typeIfEENS0_4lessEEvPT3_T4_,comdat
	.protected	_Z14sort_keys_fullILj256ELj32ELj4ELb0EN10test_utils16custom_test_typeIfEENS0_4lessEEvPT3_T4_ ; -- Begin function _Z14sort_keys_fullILj256ELj32ELj4ELb0EN10test_utils16custom_test_typeIfEENS0_4lessEEvPT3_T4_
	.globl	_Z14sort_keys_fullILj256ELj32ELj4ELb0EN10test_utils16custom_test_typeIfEENS0_4lessEEvPT3_T4_
	.p2align	8
	.type	_Z14sort_keys_fullILj256ELj32ELj4ELb0EN10test_utils16custom_test_typeIfEENS0_4lessEEvPT3_T4_,@function
_Z14sort_keys_fullILj256ELj32ELj4ELb0EN10test_utils16custom_test_typeIfEENS0_4lessEEvPT3_T4_: ; @_Z14sort_keys_fullILj256ELj32ELj4ELb0EN10test_utils16custom_test_typeIfEENS0_4lessEEvPT3_T4_
; %bb.0:
	s_load_dwordx2 s[0:1], s[4:5], 0x0
	s_lshl_b32 s2, s6, 10
	s_mov_b32 s3, 0
	s_lshl_b64 s[2:3], s[2:3], 3
	v_lshlrev_b32_e32 v11, 5, v0
	s_waitcnt lgkmcnt(0)
	s_add_u32 s2, s0, s2
	s_addc_u32 s3, s1, s3
	global_load_dwordx4 v[1:4], v11, s[2:3]
	global_load_dwordx4 v[5:8], v11, s[2:3] offset:16
	s_waitcnt vmcnt(1)
	v_cmp_lt_f32_e64 s[4:5], v3, v1
	v_cmp_nlt_f32_e32 vcc, v3, v1
	s_and_saveexec_b64 s[6:7], vcc
; %bb.1:
	v_cmp_eq_f32_e32 vcc, v3, v1
	v_cmp_lt_f32_e64 s[0:1], v4, v2
	s_and_b64 s[0:1], vcc, s[0:1]
	s_andn2_b64 s[4:5], s[4:5], exec
	s_and_b64 s[0:1], s[0:1], exec
	s_or_b64 s[4:5], s[4:5], s[0:1]
; %bb.2:
	s_or_b64 exec, exec, s[6:7]
	v_mov_b32_e32 v10, v4
	v_mov_b32_e32 v9, v3
	s_and_saveexec_b64 s[0:1], s[4:5]
; %bb.3:
	v_mov_b32_e32 v10, v2
	v_mov_b32_e32 v9, v1
	v_mov_b32_e32 v2, v4
	v_mov_b32_e32 v1, v3
; %bb.4:
	s_or_b64 exec, exec, s[0:1]
	s_waitcnt vmcnt(0)
	v_cmp_lt_f32_e64 s[4:5], v7, v5
	v_cmp_nlt_f32_e32 vcc, v7, v5
	s_and_saveexec_b64 s[6:7], vcc
; %bb.5:
	v_cmp_eq_f32_e32 vcc, v7, v5
	v_cmp_lt_f32_e64 s[0:1], v8, v6
	s_and_b64 s[0:1], vcc, s[0:1]
	s_andn2_b64 s[4:5], s[4:5], exec
	s_and_b64 s[0:1], s[0:1], exec
	s_or_b64 s[4:5], s[4:5], s[0:1]
; %bb.6:
	s_or_b64 exec, exec, s[6:7]
	v_mov_b32_e32 v13, v8
	v_mov_b32_e32 v15, v7
	s_and_saveexec_b64 s[0:1], s[4:5]
; %bb.7:
	v_mov_b32_e32 v13, v6
	v_mov_b32_e32 v15, v5
	;; [unrolled: 1-line block ×4, first 2 shown]
; %bb.8:
	s_or_b64 exec, exec, s[0:1]
	v_cmp_nlt_f32_e32 vcc, v5, v9
	s_mov_b64 s[0:1], -1
	s_and_saveexec_b64 s[4:5], vcc
	s_xor_b64 s[4:5], exec, s[4:5]
; %bb.9:
	v_cmp_eq_f32_e32 vcc, v5, v9
	v_cmp_lt_f32_e64 s[0:1], v6, v10
	s_and_b64 s[0:1], vcc, s[0:1]
	s_orn2_b64 s[0:1], s[0:1], exec
; %bb.10:
	s_or_b64 exec, exec, s[4:5]
	v_mov_b32_e32 v12, v6
	v_mov_b32_e32 v14, v5
	s_and_saveexec_b64 s[4:5], s[0:1]
; %bb.11:
	v_mov_b32_e32 v12, v10
	v_mov_b32_e32 v14, v9
	v_mov_b32_e32 v10, v6
	v_mov_b32_e32 v9, v5
; %bb.12:
	s_or_b64 exec, exec, s[4:5]
	v_cmp_lt_f32_e64 s[4:5], v9, v1
	v_cmp_nlt_f32_e32 vcc, v9, v1
	s_and_saveexec_b64 s[6:7], vcc
; %bb.13:
	v_cmp_eq_f32_e32 vcc, v9, v1
	v_cmp_lt_f32_e64 s[0:1], v10, v2
	s_and_b64 s[0:1], vcc, s[0:1]
	s_andn2_b64 s[4:5], s[4:5], exec
	s_and_b64 s[0:1], s[0:1], exec
	s_or_b64 s[4:5], s[4:5], s[0:1]
; %bb.14:
	s_or_b64 exec, exec, s[6:7]
	v_mov_b32_e32 v4, v2
	v_mov_b32_e32 v3, v1
	s_and_saveexec_b64 s[0:1], s[4:5]
; %bb.15:
	v_mov_b32_e32 v4, v10
	v_mov_b32_e32 v3, v9
	v_mov_b32_e32 v10, v2
	v_mov_b32_e32 v9, v1
; %bb.16:
	s_or_b64 exec, exec, s[0:1]
	v_cmp_lt_f32_e64 s[4:5], v15, v14
	v_cmp_nlt_f32_e32 vcc, v15, v14
	s_and_saveexec_b64 s[6:7], vcc
; %bb.17:
	v_cmp_eq_f32_e32 vcc, v15, v14
	v_cmp_lt_f32_e64 s[0:1], v13, v12
	s_and_b64 s[0:1], vcc, s[0:1]
	s_andn2_b64 s[4:5], s[4:5], exec
	s_and_b64 s[0:1], s[0:1], exec
	s_or_b64 s[4:5], s[4:5], s[0:1]
	;; [unrolled: 22-line block ×3, first 2 shown]
; %bb.22:
	s_or_b64 exec, exec, s[6:7]
	v_mov_b32_e32 v2, s3
	v_mov_b32_e32 v8, v12
	;; [unrolled: 1-line block ×3, first 2 shown]
	s_and_saveexec_b64 s[0:1], s[4:5]
; %bb.23:
	v_mov_b32_e32 v8, v10
	v_mov_b32_e32 v7, v9
	;; [unrolled: 1-line block ×4, first 2 shown]
; %bb.24:
	s_or_b64 exec, exec, s[0:1]
	v_mbcnt_lo_u32_b32 v12, -1, 0
	v_mbcnt_hi_u32_b32 v12, -1, v12
	v_lshlrev_b32_e32 v21, 2, v12
	v_and_b32_e32 v19, 0x7c, v21
	v_lshrrev_b32_e32 v0, 5, v0
	s_movk_i32 s0, 0x408
	v_lshlrev_b32_e32 v12, 3, v19
	v_mad_u32_u24 v20, v0, s0, v12
	v_and_b32_e32 v12, 0x78, v21
	v_or_b32_e32 v22, 4, v12
	v_add_co_u32_e32 v1, vcc, s2, v11
	; wave barrier
	ds_write2_b64 v20, v[3:4], v[9:10] offset1:1
	ds_write2_b64 v20, v[7:8], v[5:6] offset0:2 offset1:3
	v_and_b32_e32 v7, 4, v21
	v_sub_u32_e32 v4, v22, v12
	v_addc_co_u32_e32 v2, vcc, 0, v2, vcc
	v_lshlrev_b32_e32 v3, 3, v12
	v_min_i32_e32 v4, v7, v4
	v_mov_b32_e32 v11, 0
	v_mad_u32_u24 v3, v0, s0, v3
	v_cmp_lt_i32_e32 vcc, 0, v4
	; wave barrier
	s_and_saveexec_b64 s[0:1], vcc
	s_cbranch_execz .LBB25_32
; %bb.25:
	v_lshl_add_u32 v5, v7, 3, v3
	v_mov_b32_e32 v11, 0
	s_mov_b64 s[2:3], 0
                                        ; implicit-def: $sgpr4_sgpr5
	s_branch .LBB25_28
.LBB25_26:                              ;   in Loop: Header=BB25_28 Depth=1
	s_or_b64 exec, exec, s[10:11]
	s_andn2_b64 s[4:5], s[4:5], exec
	s_and_b64 s[8:9], s[8:9], exec
	s_or_b64 s[4:5], s[4:5], s[8:9]
.LBB25_27:                              ;   in Loop: Header=BB25_28 Depth=1
	s_or_b64 exec, exec, s[6:7]
	v_add_u32_e32 v8, 1, v6
	v_cndmask_b32_e64 v4, v4, v6, s[4:5]
	v_cndmask_b32_e64 v11, v8, v11, s[4:5]
	v_cmp_ge_i32_e32 vcc, v11, v4
	s_or_b64 s[2:3], vcc, s[2:3]
	s_andn2_b64 exec, exec, s[2:3]
	s_cbranch_execz .LBB25_31
.LBB25_28:                              ; =>This Inner Loop Header: Depth=1
	v_sub_u32_e32 v6, v4, v11
	v_lshrrev_b32_e32 v6, 1, v6
	v_add_u32_e32 v6, v6, v11
	v_lshl_add_u32 v8, v6, 3, v3
	v_not_b32_e32 v9, v6
	v_lshl_add_u32 v9, v9, 3, v5
	ds_read_b32 v10, v8
	ds_read_b32 v13, v9 offset:32
	s_or_b64 s[4:5], s[4:5], exec
	s_waitcnt lgkmcnt(0)
	v_cmp_nlt_f32_e32 vcc, v13, v10
	s_and_saveexec_b64 s[6:7], vcc
	s_cbranch_execz .LBB25_27
; %bb.29:                               ;   in Loop: Header=BB25_28 Depth=1
	v_cmp_eq_f32_e32 vcc, v13, v10
	s_mov_b64 s[8:9], 0
	s_and_saveexec_b64 s[10:11], vcc
	s_cbranch_execz .LBB25_26
; %bb.30:                               ;   in Loop: Header=BB25_28 Depth=1
	ds_read_b32 v9, v9 offset:36
	ds_read_b32 v8, v8 offset:4
	s_waitcnt lgkmcnt(0)
	v_cmp_lt_f32_e32 vcc, v9, v8
	s_and_b64 s[8:9], vcc, exec
	s_branch .LBB25_26
.LBB25_31:
	s_or_b64 exec, exec, s[2:3]
.LBB25_32:
	s_or_b64 exec, exec, s[0:1]
	v_lshl_add_u32 v10, v11, 3, v3
	v_add_u32_e32 v3, v12, v7
	v_mul_u32_u24_e32 v0, 0x408, v0
	v_sub_u32_e32 v3, v3, v11
	v_lshl_add_u32 v14, v3, 3, v0
	ds_read_b64 v[3:4], v14 offset:32
	ds_read_b64 v[5:6], v10
	v_add_u32_e32 v7, v22, v7
	v_add_u32_e32 v23, 8, v12
	v_sub_u32_e32 v13, v7, v11
	s_waitcnt lgkmcnt(1)
	v_mov_b32_e32 v7, v3
	v_mov_b32_e32 v8, v4
	v_cmp_gt_i32_e32 vcc, v23, v13
	s_mov_b64 s[2:3], 0
	s_and_saveexec_b64 s[4:5], vcc
	s_cbranch_execz .LBB25_38
; %bb.33:
	v_cmp_gt_i32_e32 vcc, 4, v11
	s_waitcnt lgkmcnt(0)
	v_cmp_nlt_f32_e64 s[0:1], v3, v5
	s_and_b64 s[6:7], vcc, s[0:1]
	s_mov_b64 s[2:3], -1
	s_and_saveexec_b64 s[0:1], s[6:7]
	s_cbranch_execz .LBB25_37
; %bb.34:
	v_cmp_eq_f32_e32 vcc, v3, v5
	s_mov_b64 s[2:3], 0
	s_and_saveexec_b64 s[6:7], vcc
; %bb.35:
	v_cmp_lt_f32_e32 vcc, v4, v6
	s_and_b64 s[2:3], vcc, exec
; %bb.36:
	s_or_b64 exec, exec, s[6:7]
	s_orn2_b64 s[2:3], s[2:3], exec
.LBB25_37:
	s_or_b64 exec, exec, s[0:1]
	s_and_b64 s[2:3], s[2:3], exec
.LBB25_38:
	s_or_b64 exec, exec, s[4:5]
	s_xor_b64 s[0:1], s[2:3], -1
                                        ; implicit-def: $vgpr9
	s_and_saveexec_b64 s[4:5], s[0:1]
	s_xor_b64 s[0:1], exec, s[4:5]
; %bb.39:
	ds_read_b64 v[9:10], v10 offset:8
                                        ; implicit-def: $vgpr14
; %bb.40:
	s_andn2_saveexec_b64 s[0:1], s[0:1]
	s_cbranch_execz .LBB25_42
; %bb.41:
	ds_read_b64 v[7:8], v14 offset:40
	s_waitcnt lgkmcnt(1)
	v_mov_b32_e32 v10, v6
	v_mov_b32_e32 v9, v5
.LBB25_42:
	s_or_b64 exec, exec, s[0:1]
	v_add_u32_e32 v11, v11, v12
	v_add_u32_e32 v12, 1, v13
	;; [unrolled: 1-line block ×3, first 2 shown]
	v_cndmask_b32_e64 v15, v13, v12, s[2:3]
	v_cndmask_b32_e64 v16, v14, v11, s[2:3]
	v_cmp_lt_i32_e32 vcc, v15, v23
	s_mov_b64 s[4:5], 0
	s_and_saveexec_b64 s[6:7], vcc
	s_cbranch_execz .LBB25_48
; %bb.43:
	v_cmp_lt_i32_e32 vcc, v16, v22
	s_waitcnt lgkmcnt(0)
	v_cmp_nlt_f32_e64 s[0:1], v7, v9
	s_and_b64 s[8:9], vcc, s[0:1]
	s_mov_b64 s[4:5], -1
	s_and_saveexec_b64 s[0:1], s[8:9]
	s_cbranch_execz .LBB25_47
; %bb.44:
	v_cmp_eq_f32_e32 vcc, v7, v9
	s_mov_b64 s[4:5], 0
	s_and_saveexec_b64 s[8:9], vcc
; %bb.45:
	v_cmp_lt_f32_e32 vcc, v8, v10
	s_and_b64 s[4:5], vcc, exec
; %bb.46:
	s_or_b64 exec, exec, s[8:9]
	s_orn2_b64 s[4:5], s[4:5], exec
.LBB25_47:
	s_or_b64 exec, exec, s[0:1]
	s_and_b64 s[4:5], s[4:5], exec
.LBB25_48:
	s_or_b64 exec, exec, s[6:7]
	s_xor_b64 s[0:1], s[4:5], -1
                                        ; implicit-def: $vgpr11
	s_and_saveexec_b64 s[6:7], s[0:1]
	s_xor_b64 s[0:1], exec, s[6:7]
; %bb.49:
	v_lshl_add_u32 v11, v16, 3, v0
	ds_read_b64 v[11:12], v11 offset:8
; %bb.50:
	s_or_saveexec_b64 s[0:1], s[0:1]
	s_waitcnt lgkmcnt(0)
	v_mov_b32_e32 v13, v7
	v_mov_b32_e32 v14, v8
	s_xor_b64 exec, exec, s[0:1]
; %bb.51:
	v_lshl_add_u32 v11, v15, 3, v0
	ds_read_b64 v[13:14], v11 offset:8
	v_mov_b32_e32 v12, v10
	v_mov_b32_e32 v11, v9
; %bb.52:
	s_or_b64 exec, exec, s[0:1]
	v_add_u32_e32 v17, 1, v15
	v_add_u32_e32 v18, 1, v16
	v_cndmask_b32_e64 v25, v15, v17, s[4:5]
	v_cndmask_b32_e64 v24, v18, v16, s[4:5]
	v_cmp_lt_i32_e32 vcc, v25, v23
	s_mov_b64 s[6:7], 0
	s_and_saveexec_b64 s[8:9], vcc
	s_cbranch_execz .LBB25_58
; %bb.53:
	v_cmp_lt_i32_e32 vcc, v24, v22
	s_waitcnt lgkmcnt(0)
	v_cmp_nlt_f32_e64 s[0:1], v13, v11
	s_and_b64 s[10:11], vcc, s[0:1]
	s_mov_b64 s[6:7], -1
	s_and_saveexec_b64 s[0:1], s[10:11]
	s_cbranch_execz .LBB25_57
; %bb.54:
	v_cmp_eq_f32_e32 vcc, v13, v11
	s_mov_b64 s[6:7], 0
	s_and_saveexec_b64 s[10:11], vcc
; %bb.55:
	v_cmp_lt_f32_e32 vcc, v14, v12
	s_and_b64 s[6:7], vcc, exec
; %bb.56:
	s_or_b64 exec, exec, s[10:11]
	s_orn2_b64 s[6:7], s[6:7], exec
.LBB25_57:
	s_or_b64 exec, exec, s[0:1]
	s_and_b64 s[6:7], s[6:7], exec
.LBB25_58:
	s_or_b64 exec, exec, s[8:9]
	s_xor_b64 s[0:1], s[6:7], -1
                                        ; implicit-def: $vgpr15
	s_and_saveexec_b64 s[8:9], s[0:1]
	s_xor_b64 s[0:1], exec, s[8:9]
; %bb.59:
	v_lshl_add_u32 v15, v24, 3, v0
	ds_read_b64 v[15:16], v15 offset:8
; %bb.60:
	s_or_saveexec_b64 s[0:1], s[0:1]
	s_waitcnt lgkmcnt(0)
	v_mov_b32_e32 v17, v13
	v_mov_b32_e32 v18, v14
	s_xor_b64 exec, exec, s[0:1]
; %bb.61:
	v_lshl_add_u32 v15, v25, 3, v0
	ds_read_b64 v[17:18], v15 offset:8
	v_mov_b32_e32 v16, v12
	v_mov_b32_e32 v15, v11
; %bb.62:
	s_or_b64 exec, exec, s[0:1]
	v_add_u32_e32 v26, 1, v25
	v_cndmask_b32_e64 v25, v25, v26, s[6:7]
	v_cmp_lt_i32_e32 vcc, v25, v23
	s_mov_b64 s[0:1], 0
	s_and_saveexec_b64 s[8:9], vcc
	s_cbranch_execz .LBB25_68
; %bb.63:
	v_add_u32_e32 v23, 1, v24
	v_cndmask_b32_e64 v23, v23, v24, s[6:7]
	v_cmp_lt_i32_e32 vcc, v23, v22
	s_waitcnt lgkmcnt(0)
	v_cmp_nlt_f32_e64 s[0:1], v17, v15
	s_and_b64 s[12:13], vcc, s[0:1]
	s_mov_b64 s[10:11], -1
	s_and_saveexec_b64 s[0:1], s[12:13]
	s_cbranch_execz .LBB25_67
; %bb.64:
	v_cmp_eq_f32_e32 vcc, v17, v15
	s_mov_b64 s[10:11], 0
	s_and_saveexec_b64 s[12:13], vcc
; %bb.65:
	v_cmp_lt_f32_e32 vcc, v18, v16
	s_and_b64 s[10:11], vcc, exec
; %bb.66:
	s_or_b64 exec, exec, s[12:13]
	s_orn2_b64 s[10:11], s[10:11], exec
.LBB25_67:
	s_or_b64 exec, exec, s[0:1]
	s_and_b64 s[0:1], s[10:11], exec
.LBB25_68:
	s_or_b64 exec, exec, s[8:9]
	v_cndmask_b32_e64 v11, v11, v13, s[6:7]
	v_cndmask_b32_e64 v7, v9, v7, s[4:5]
	;; [unrolled: 1-line block ×6, first 2 shown]
	s_waitcnt lgkmcnt(0)
	v_cndmask_b32_e64 v5, v15, v17, s[0:1]
	v_cndmask_b32_e64 v6, v16, v18, s[0:1]
	; wave barrier
	ds_write2_b64 v20, v[3:4], v[7:8] offset1:1
	ds_write2_b64 v20, v[11:12], v[5:6] offset0:2 offset1:3
	v_and_b32_e32 v11, 0x70, v21
	v_or_b32_e32 v22, 8, v11
	v_and_b32_e32 v7, 12, v21
	v_sub_u32_e32 v4, v22, v11
	v_sub_u32_e64 v12, v7, 8 clamp
	v_min_i32_e32 v4, v7, v4
	v_lshl_add_u32 v3, v11, 3, v0
	v_cmp_lt_i32_e32 vcc, v12, v4
	; wave barrier
	s_and_saveexec_b64 s[0:1], vcc
	s_cbranch_execz .LBB25_76
; %bb.69:
	v_lshl_add_u32 v5, v7, 3, v3
	s_mov_b64 s[2:3], 0
                                        ; implicit-def: $sgpr4_sgpr5
	s_branch .LBB25_72
.LBB25_70:                              ;   in Loop: Header=BB25_72 Depth=1
	s_or_b64 exec, exec, s[10:11]
	s_andn2_b64 s[4:5], s[4:5], exec
	s_and_b64 s[8:9], s[8:9], exec
	s_or_b64 s[4:5], s[4:5], s[8:9]
.LBB25_71:                              ;   in Loop: Header=BB25_72 Depth=1
	s_or_b64 exec, exec, s[6:7]
	v_add_u32_e32 v8, 1, v6
	v_cndmask_b32_e64 v4, v4, v6, s[4:5]
	v_cndmask_b32_e64 v12, v8, v12, s[4:5]
	v_cmp_ge_i32_e32 vcc, v12, v4
	s_or_b64 s[2:3], vcc, s[2:3]
	s_andn2_b64 exec, exec, s[2:3]
	s_cbranch_execz .LBB25_75
.LBB25_72:                              ; =>This Inner Loop Header: Depth=1
	v_sub_u32_e32 v6, v4, v12
	v_lshrrev_b32_e32 v6, 1, v6
	v_add_u32_e32 v6, v6, v12
	v_lshl_add_u32 v8, v6, 3, v3
	v_not_b32_e32 v9, v6
	v_lshl_add_u32 v9, v9, 3, v5
	ds_read_b32 v10, v8
	ds_read_b32 v13, v9 offset:64
	s_or_b64 s[4:5], s[4:5], exec
	s_waitcnt lgkmcnt(0)
	v_cmp_nlt_f32_e32 vcc, v13, v10
	s_and_saveexec_b64 s[6:7], vcc
	s_cbranch_execz .LBB25_71
; %bb.73:                               ;   in Loop: Header=BB25_72 Depth=1
	v_cmp_eq_f32_e32 vcc, v13, v10
	s_mov_b64 s[8:9], 0
	s_and_saveexec_b64 s[10:11], vcc
	s_cbranch_execz .LBB25_70
; %bb.74:                               ;   in Loop: Header=BB25_72 Depth=1
	ds_read_b32 v9, v9 offset:68
	ds_read_b32 v8, v8 offset:4
	s_waitcnt lgkmcnt(0)
	v_cmp_lt_f32_e32 vcc, v9, v8
	s_and_b64 s[8:9], vcc, exec
	s_branch .LBB25_70
.LBB25_75:
	s_or_b64 exec, exec, s[2:3]
.LBB25_76:
	s_or_b64 exec, exec, s[0:1]
	v_lshl_add_u32 v10, v12, 3, v3
	v_add_u32_e32 v3, v11, v7
	v_sub_u32_e32 v3, v3, v12
	v_lshl_add_u32 v14, v3, 3, v0
	ds_read_b64 v[3:4], v14 offset:64
	ds_read_b64 v[5:6], v10
	v_add_u32_e32 v7, v22, v7
	v_add_u32_e32 v23, 16, v11
	v_sub_u32_e32 v13, v7, v12
	s_waitcnt lgkmcnt(1)
	v_mov_b32_e32 v7, v3
	v_mov_b32_e32 v8, v4
	v_cmp_gt_i32_e32 vcc, v23, v13
	s_mov_b64 s[2:3], 0
	s_and_saveexec_b64 s[4:5], vcc
	s_cbranch_execz .LBB25_82
; %bb.77:
	v_cmp_gt_i32_e32 vcc, 8, v12
	s_waitcnt lgkmcnt(0)
	v_cmp_nlt_f32_e64 s[0:1], v3, v5
	s_and_b64 s[6:7], vcc, s[0:1]
	s_mov_b64 s[2:3], -1
	s_and_saveexec_b64 s[0:1], s[6:7]
	s_cbranch_execz .LBB25_81
; %bb.78:
	v_cmp_eq_f32_e32 vcc, v3, v5
	s_mov_b64 s[2:3], 0
	s_and_saveexec_b64 s[6:7], vcc
; %bb.79:
	v_cmp_lt_f32_e32 vcc, v4, v6
	s_and_b64 s[2:3], vcc, exec
; %bb.80:
	s_or_b64 exec, exec, s[6:7]
	s_orn2_b64 s[2:3], s[2:3], exec
.LBB25_81:
	s_or_b64 exec, exec, s[0:1]
	s_and_b64 s[2:3], s[2:3], exec
.LBB25_82:
	s_or_b64 exec, exec, s[4:5]
	s_xor_b64 s[0:1], s[2:3], -1
                                        ; implicit-def: $vgpr9
	s_and_saveexec_b64 s[4:5], s[0:1]
	s_xor_b64 s[0:1], exec, s[4:5]
; %bb.83:
	ds_read_b64 v[9:10], v10 offset:8
                                        ; implicit-def: $vgpr14
; %bb.84:
	s_andn2_saveexec_b64 s[0:1], s[0:1]
	s_cbranch_execz .LBB25_86
; %bb.85:
	ds_read_b64 v[7:8], v14 offset:72
	s_waitcnt lgkmcnt(1)
	v_mov_b32_e32 v10, v6
	v_mov_b32_e32 v9, v5
.LBB25_86:
	s_or_b64 exec, exec, s[0:1]
	v_add_u32_e32 v11, v12, v11
	v_add_u32_e32 v12, 1, v13
	;; [unrolled: 1-line block ×3, first 2 shown]
	v_cndmask_b32_e64 v15, v13, v12, s[2:3]
	v_cndmask_b32_e64 v16, v14, v11, s[2:3]
	v_cmp_lt_i32_e32 vcc, v15, v23
	s_mov_b64 s[4:5], 0
	s_and_saveexec_b64 s[6:7], vcc
	s_cbranch_execz .LBB25_92
; %bb.87:
	v_cmp_lt_i32_e32 vcc, v16, v22
	s_waitcnt lgkmcnt(0)
	v_cmp_nlt_f32_e64 s[0:1], v7, v9
	s_and_b64 s[8:9], vcc, s[0:1]
	s_mov_b64 s[4:5], -1
	s_and_saveexec_b64 s[0:1], s[8:9]
	s_cbranch_execz .LBB25_91
; %bb.88:
	v_cmp_eq_f32_e32 vcc, v7, v9
	s_mov_b64 s[4:5], 0
	s_and_saveexec_b64 s[8:9], vcc
; %bb.89:
	v_cmp_lt_f32_e32 vcc, v8, v10
	s_and_b64 s[4:5], vcc, exec
; %bb.90:
	s_or_b64 exec, exec, s[8:9]
	s_orn2_b64 s[4:5], s[4:5], exec
.LBB25_91:
	s_or_b64 exec, exec, s[0:1]
	s_and_b64 s[4:5], s[4:5], exec
.LBB25_92:
	s_or_b64 exec, exec, s[6:7]
	s_xor_b64 s[0:1], s[4:5], -1
                                        ; implicit-def: $vgpr11
	s_and_saveexec_b64 s[6:7], s[0:1]
	s_xor_b64 s[0:1], exec, s[6:7]
; %bb.93:
	v_lshl_add_u32 v11, v16, 3, v0
	ds_read_b64 v[11:12], v11 offset:8
; %bb.94:
	s_or_saveexec_b64 s[0:1], s[0:1]
	s_waitcnt lgkmcnt(0)
	v_mov_b32_e32 v13, v7
	v_mov_b32_e32 v14, v8
	s_xor_b64 exec, exec, s[0:1]
; %bb.95:
	v_lshl_add_u32 v11, v15, 3, v0
	ds_read_b64 v[13:14], v11 offset:8
	v_mov_b32_e32 v12, v10
	v_mov_b32_e32 v11, v9
; %bb.96:
	s_or_b64 exec, exec, s[0:1]
	v_add_u32_e32 v17, 1, v15
	v_add_u32_e32 v18, 1, v16
	v_cndmask_b32_e64 v25, v15, v17, s[4:5]
	v_cndmask_b32_e64 v24, v18, v16, s[4:5]
	v_cmp_lt_i32_e32 vcc, v25, v23
	s_mov_b64 s[6:7], 0
	s_and_saveexec_b64 s[8:9], vcc
	s_cbranch_execz .LBB25_102
; %bb.97:
	v_cmp_lt_i32_e32 vcc, v24, v22
	s_waitcnt lgkmcnt(0)
	v_cmp_nlt_f32_e64 s[0:1], v13, v11
	s_and_b64 s[10:11], vcc, s[0:1]
	s_mov_b64 s[6:7], -1
	s_and_saveexec_b64 s[0:1], s[10:11]
	s_cbranch_execz .LBB25_101
; %bb.98:
	v_cmp_eq_f32_e32 vcc, v13, v11
	s_mov_b64 s[6:7], 0
	s_and_saveexec_b64 s[10:11], vcc
; %bb.99:
	v_cmp_lt_f32_e32 vcc, v14, v12
	s_and_b64 s[6:7], vcc, exec
; %bb.100:
	s_or_b64 exec, exec, s[10:11]
	s_orn2_b64 s[6:7], s[6:7], exec
.LBB25_101:
	s_or_b64 exec, exec, s[0:1]
	s_and_b64 s[6:7], s[6:7], exec
.LBB25_102:
	s_or_b64 exec, exec, s[8:9]
	s_xor_b64 s[0:1], s[6:7], -1
                                        ; implicit-def: $vgpr15
	s_and_saveexec_b64 s[8:9], s[0:1]
	s_xor_b64 s[0:1], exec, s[8:9]
; %bb.103:
	v_lshl_add_u32 v15, v24, 3, v0
	ds_read_b64 v[15:16], v15 offset:8
; %bb.104:
	s_or_saveexec_b64 s[0:1], s[0:1]
	s_waitcnt lgkmcnt(0)
	v_mov_b32_e32 v17, v13
	v_mov_b32_e32 v18, v14
	s_xor_b64 exec, exec, s[0:1]
; %bb.105:
	v_lshl_add_u32 v15, v25, 3, v0
	ds_read_b64 v[17:18], v15 offset:8
	v_mov_b32_e32 v16, v12
	v_mov_b32_e32 v15, v11
; %bb.106:
	s_or_b64 exec, exec, s[0:1]
	v_add_u32_e32 v26, 1, v25
	v_cndmask_b32_e64 v25, v25, v26, s[6:7]
	v_cmp_lt_i32_e32 vcc, v25, v23
	s_mov_b64 s[0:1], 0
	s_and_saveexec_b64 s[8:9], vcc
	s_cbranch_execz .LBB25_112
; %bb.107:
	v_add_u32_e32 v23, 1, v24
	v_cndmask_b32_e64 v23, v23, v24, s[6:7]
	v_cmp_lt_i32_e32 vcc, v23, v22
	s_waitcnt lgkmcnt(0)
	v_cmp_nlt_f32_e64 s[0:1], v17, v15
	s_and_b64 s[12:13], vcc, s[0:1]
	s_mov_b64 s[10:11], -1
	s_and_saveexec_b64 s[0:1], s[12:13]
	s_cbranch_execz .LBB25_111
; %bb.108:
	v_cmp_eq_f32_e32 vcc, v17, v15
	s_mov_b64 s[10:11], 0
	s_and_saveexec_b64 s[12:13], vcc
; %bb.109:
	v_cmp_lt_f32_e32 vcc, v18, v16
	s_and_b64 s[10:11], vcc, exec
; %bb.110:
	s_or_b64 exec, exec, s[12:13]
	s_orn2_b64 s[10:11], s[10:11], exec
.LBB25_111:
	s_or_b64 exec, exec, s[0:1]
	s_and_b64 s[0:1], s[10:11], exec
.LBB25_112:
	s_or_b64 exec, exec, s[8:9]
	v_cndmask_b32_e64 v11, v11, v13, s[6:7]
	v_cndmask_b32_e64 v7, v9, v7, s[4:5]
	;; [unrolled: 1-line block ×6, first 2 shown]
	s_waitcnt lgkmcnt(0)
	v_cndmask_b32_e64 v5, v15, v17, s[0:1]
	v_cndmask_b32_e64 v6, v16, v18, s[0:1]
	; wave barrier
	ds_write2_b64 v20, v[3:4], v[7:8] offset1:1
	ds_write2_b64 v20, v[11:12], v[5:6] offset0:2 offset1:3
	v_and_b32_e32 v11, 0x60, v21
	v_or_b32_e32 v22, 16, v11
	v_and_b32_e32 v7, 28, v21
	v_sub_u32_e32 v4, v22, v11
	v_sub_u32_e64 v12, v7, 16 clamp
	v_min_i32_e32 v4, v7, v4
	v_lshl_add_u32 v3, v11, 3, v0
	v_cmp_lt_i32_e32 vcc, v12, v4
	; wave barrier
	s_and_saveexec_b64 s[0:1], vcc
	s_cbranch_execz .LBB25_120
; %bb.113:
	v_lshl_add_u32 v5, v7, 3, v3
	s_mov_b64 s[2:3], 0
                                        ; implicit-def: $sgpr4_sgpr5
	s_branch .LBB25_116
.LBB25_114:                             ;   in Loop: Header=BB25_116 Depth=1
	s_or_b64 exec, exec, s[10:11]
	s_andn2_b64 s[4:5], s[4:5], exec
	s_and_b64 s[8:9], s[8:9], exec
	s_or_b64 s[4:5], s[4:5], s[8:9]
.LBB25_115:                             ;   in Loop: Header=BB25_116 Depth=1
	s_or_b64 exec, exec, s[6:7]
	v_add_u32_e32 v8, 1, v6
	v_cndmask_b32_e64 v4, v4, v6, s[4:5]
	v_cndmask_b32_e64 v12, v8, v12, s[4:5]
	v_cmp_ge_i32_e32 vcc, v12, v4
	s_or_b64 s[2:3], vcc, s[2:3]
	s_andn2_b64 exec, exec, s[2:3]
	s_cbranch_execz .LBB25_119
.LBB25_116:                             ; =>This Inner Loop Header: Depth=1
	v_sub_u32_e32 v6, v4, v12
	v_lshrrev_b32_e32 v6, 1, v6
	v_add_u32_e32 v6, v6, v12
	v_lshl_add_u32 v8, v6, 3, v3
	v_not_b32_e32 v9, v6
	v_lshl_add_u32 v9, v9, 3, v5
	ds_read_b32 v10, v8
	ds_read_b32 v13, v9 offset:128
	s_or_b64 s[4:5], s[4:5], exec
	s_waitcnt lgkmcnt(0)
	v_cmp_nlt_f32_e32 vcc, v13, v10
	s_and_saveexec_b64 s[6:7], vcc
	s_cbranch_execz .LBB25_115
; %bb.117:                              ;   in Loop: Header=BB25_116 Depth=1
	v_cmp_eq_f32_e32 vcc, v13, v10
	s_mov_b64 s[8:9], 0
	s_and_saveexec_b64 s[10:11], vcc
	s_cbranch_execz .LBB25_114
; %bb.118:                              ;   in Loop: Header=BB25_116 Depth=1
	ds_read_b32 v9, v9 offset:132
	ds_read_b32 v8, v8 offset:4
	s_waitcnt lgkmcnt(0)
	v_cmp_lt_f32_e32 vcc, v9, v8
	s_and_b64 s[8:9], vcc, exec
	s_branch .LBB25_114
.LBB25_119:
	s_or_b64 exec, exec, s[2:3]
.LBB25_120:
	s_or_b64 exec, exec, s[0:1]
	v_lshl_add_u32 v10, v12, 3, v3
	v_add_u32_e32 v3, v11, v7
	v_sub_u32_e32 v3, v3, v12
	v_lshl_add_u32 v14, v3, 3, v0
	ds_read_b64 v[3:4], v14 offset:128
	ds_read_b64 v[5:6], v10
	v_add_u32_e32 v7, v22, v7
	v_add_u32_e32 v23, 32, v11
	v_sub_u32_e32 v13, v7, v12
	s_waitcnt lgkmcnt(1)
	v_mov_b32_e32 v7, v3
	v_mov_b32_e32 v8, v4
	v_cmp_gt_i32_e32 vcc, v23, v13
	s_mov_b64 s[2:3], 0
	s_and_saveexec_b64 s[4:5], vcc
	s_cbranch_execz .LBB25_126
; %bb.121:
	v_cmp_gt_i32_e32 vcc, 16, v12
	s_waitcnt lgkmcnt(0)
	v_cmp_nlt_f32_e64 s[0:1], v3, v5
	s_and_b64 s[6:7], vcc, s[0:1]
	s_mov_b64 s[2:3], -1
	s_and_saveexec_b64 s[0:1], s[6:7]
	s_cbranch_execz .LBB25_125
; %bb.122:
	v_cmp_eq_f32_e32 vcc, v3, v5
	s_mov_b64 s[2:3], 0
	s_and_saveexec_b64 s[6:7], vcc
; %bb.123:
	v_cmp_lt_f32_e32 vcc, v4, v6
	s_and_b64 s[2:3], vcc, exec
; %bb.124:
	s_or_b64 exec, exec, s[6:7]
	s_orn2_b64 s[2:3], s[2:3], exec
.LBB25_125:
	s_or_b64 exec, exec, s[0:1]
	s_and_b64 s[2:3], s[2:3], exec
.LBB25_126:
	s_or_b64 exec, exec, s[4:5]
	s_xor_b64 s[0:1], s[2:3], -1
                                        ; implicit-def: $vgpr9
	s_and_saveexec_b64 s[4:5], s[0:1]
	s_xor_b64 s[0:1], exec, s[4:5]
; %bb.127:
	ds_read_b64 v[9:10], v10 offset:8
                                        ; implicit-def: $vgpr14
; %bb.128:
	s_andn2_saveexec_b64 s[0:1], s[0:1]
	s_cbranch_execz .LBB25_130
; %bb.129:
	ds_read_b64 v[7:8], v14 offset:136
	s_waitcnt lgkmcnt(1)
	v_mov_b32_e32 v10, v6
	v_mov_b32_e32 v9, v5
.LBB25_130:
	s_or_b64 exec, exec, s[0:1]
	v_add_u32_e32 v11, v12, v11
	v_add_u32_e32 v12, 1, v13
	;; [unrolled: 1-line block ×3, first 2 shown]
	v_cndmask_b32_e64 v15, v13, v12, s[2:3]
	v_cndmask_b32_e64 v16, v14, v11, s[2:3]
	v_cmp_lt_i32_e32 vcc, v15, v23
	s_mov_b64 s[4:5], 0
	s_and_saveexec_b64 s[6:7], vcc
	s_cbranch_execz .LBB25_136
; %bb.131:
	v_cmp_lt_i32_e32 vcc, v16, v22
	s_waitcnt lgkmcnt(0)
	v_cmp_nlt_f32_e64 s[0:1], v7, v9
	s_and_b64 s[8:9], vcc, s[0:1]
	s_mov_b64 s[4:5], -1
	s_and_saveexec_b64 s[0:1], s[8:9]
	s_cbranch_execz .LBB25_135
; %bb.132:
	v_cmp_eq_f32_e32 vcc, v7, v9
	s_mov_b64 s[4:5], 0
	s_and_saveexec_b64 s[8:9], vcc
; %bb.133:
	v_cmp_lt_f32_e32 vcc, v8, v10
	s_and_b64 s[4:5], vcc, exec
; %bb.134:
	s_or_b64 exec, exec, s[8:9]
	s_orn2_b64 s[4:5], s[4:5], exec
.LBB25_135:
	s_or_b64 exec, exec, s[0:1]
	s_and_b64 s[4:5], s[4:5], exec
.LBB25_136:
	s_or_b64 exec, exec, s[6:7]
	s_xor_b64 s[0:1], s[4:5], -1
                                        ; implicit-def: $vgpr11
	s_and_saveexec_b64 s[6:7], s[0:1]
	s_xor_b64 s[0:1], exec, s[6:7]
; %bb.137:
	v_lshl_add_u32 v11, v16, 3, v0
	ds_read_b64 v[11:12], v11 offset:8
; %bb.138:
	s_or_saveexec_b64 s[0:1], s[0:1]
	s_waitcnt lgkmcnt(0)
	v_mov_b32_e32 v13, v7
	v_mov_b32_e32 v14, v8
	s_xor_b64 exec, exec, s[0:1]
; %bb.139:
	v_lshl_add_u32 v11, v15, 3, v0
	ds_read_b64 v[13:14], v11 offset:8
	v_mov_b32_e32 v12, v10
	v_mov_b32_e32 v11, v9
; %bb.140:
	s_or_b64 exec, exec, s[0:1]
	v_add_u32_e32 v17, 1, v15
	v_add_u32_e32 v18, 1, v16
	v_cndmask_b32_e64 v25, v15, v17, s[4:5]
	v_cndmask_b32_e64 v24, v18, v16, s[4:5]
	v_cmp_lt_i32_e32 vcc, v25, v23
	s_mov_b64 s[6:7], 0
	s_and_saveexec_b64 s[8:9], vcc
	s_cbranch_execz .LBB25_146
; %bb.141:
	v_cmp_lt_i32_e32 vcc, v24, v22
	s_waitcnt lgkmcnt(0)
	v_cmp_nlt_f32_e64 s[0:1], v13, v11
	s_and_b64 s[10:11], vcc, s[0:1]
	s_mov_b64 s[6:7], -1
	s_and_saveexec_b64 s[0:1], s[10:11]
	s_cbranch_execz .LBB25_145
; %bb.142:
	v_cmp_eq_f32_e32 vcc, v13, v11
	s_mov_b64 s[6:7], 0
	s_and_saveexec_b64 s[10:11], vcc
; %bb.143:
	v_cmp_lt_f32_e32 vcc, v14, v12
	s_and_b64 s[6:7], vcc, exec
; %bb.144:
	s_or_b64 exec, exec, s[10:11]
	s_orn2_b64 s[6:7], s[6:7], exec
.LBB25_145:
	s_or_b64 exec, exec, s[0:1]
	s_and_b64 s[6:7], s[6:7], exec
.LBB25_146:
	s_or_b64 exec, exec, s[8:9]
	s_xor_b64 s[0:1], s[6:7], -1
                                        ; implicit-def: $vgpr15
	s_and_saveexec_b64 s[8:9], s[0:1]
	s_xor_b64 s[0:1], exec, s[8:9]
; %bb.147:
	v_lshl_add_u32 v15, v24, 3, v0
	ds_read_b64 v[15:16], v15 offset:8
; %bb.148:
	s_or_saveexec_b64 s[0:1], s[0:1]
	s_waitcnt lgkmcnt(0)
	v_mov_b32_e32 v17, v13
	v_mov_b32_e32 v18, v14
	s_xor_b64 exec, exec, s[0:1]
; %bb.149:
	v_lshl_add_u32 v15, v25, 3, v0
	ds_read_b64 v[17:18], v15 offset:8
	v_mov_b32_e32 v16, v12
	v_mov_b32_e32 v15, v11
; %bb.150:
	s_or_b64 exec, exec, s[0:1]
	v_add_u32_e32 v26, 1, v25
	v_cndmask_b32_e64 v25, v25, v26, s[6:7]
	v_cmp_lt_i32_e32 vcc, v25, v23
	s_mov_b64 s[0:1], 0
	s_and_saveexec_b64 s[8:9], vcc
	s_cbranch_execz .LBB25_156
; %bb.151:
	v_add_u32_e32 v23, 1, v24
	v_cndmask_b32_e64 v23, v23, v24, s[6:7]
	v_cmp_lt_i32_e32 vcc, v23, v22
	s_waitcnt lgkmcnt(0)
	v_cmp_nlt_f32_e64 s[0:1], v17, v15
	s_and_b64 s[12:13], vcc, s[0:1]
	s_mov_b64 s[10:11], -1
	s_and_saveexec_b64 s[0:1], s[12:13]
	s_cbranch_execz .LBB25_155
; %bb.152:
	v_cmp_eq_f32_e32 vcc, v17, v15
	s_mov_b64 s[10:11], 0
	s_and_saveexec_b64 s[12:13], vcc
; %bb.153:
	v_cmp_lt_f32_e32 vcc, v18, v16
	s_and_b64 s[10:11], vcc, exec
; %bb.154:
	s_or_b64 exec, exec, s[12:13]
	s_orn2_b64 s[10:11], s[10:11], exec
.LBB25_155:
	s_or_b64 exec, exec, s[0:1]
	s_and_b64 s[0:1], s[10:11], exec
.LBB25_156:
	s_or_b64 exec, exec, s[8:9]
	v_cndmask_b32_e64 v11, v11, v13, s[6:7]
	v_cndmask_b32_e64 v7, v9, v7, s[4:5]
	;; [unrolled: 1-line block ×6, first 2 shown]
	s_waitcnt lgkmcnt(0)
	v_cndmask_b32_e64 v5, v15, v17, s[0:1]
	v_cndmask_b32_e64 v6, v16, v18, s[0:1]
	; wave barrier
	ds_write2_b64 v20, v[3:4], v[7:8] offset1:1
	ds_write2_b64 v20, v[11:12], v[5:6] offset0:2 offset1:3
	v_and_b32_e32 v11, 64, v21
	v_and_b32_e32 v7, 60, v21
	v_or_b32_e32 v21, 32, v11
	v_sub_u32_e32 v4, v21, v11
	v_sub_u32_e64 v12, v7, 32 clamp
	v_min_i32_e32 v4, v7, v4
	v_lshl_add_u32 v3, v11, 3, v0
	v_cmp_lt_i32_e32 vcc, v12, v4
	; wave barrier
	s_and_saveexec_b64 s[0:1], vcc
	s_cbranch_execz .LBB25_164
; %bb.157:
	v_lshl_add_u32 v5, v7, 3, v3
	s_mov_b64 s[2:3], 0
                                        ; implicit-def: $sgpr4_sgpr5
	s_branch .LBB25_160
.LBB25_158:                             ;   in Loop: Header=BB25_160 Depth=1
	s_or_b64 exec, exec, s[10:11]
	s_andn2_b64 s[4:5], s[4:5], exec
	s_and_b64 s[8:9], s[8:9], exec
	s_or_b64 s[4:5], s[4:5], s[8:9]
.LBB25_159:                             ;   in Loop: Header=BB25_160 Depth=1
	s_or_b64 exec, exec, s[6:7]
	v_add_u32_e32 v8, 1, v6
	v_cndmask_b32_e64 v4, v4, v6, s[4:5]
	v_cndmask_b32_e64 v12, v8, v12, s[4:5]
	v_cmp_ge_i32_e32 vcc, v12, v4
	s_or_b64 s[2:3], vcc, s[2:3]
	s_andn2_b64 exec, exec, s[2:3]
	s_cbranch_execz .LBB25_163
.LBB25_160:                             ; =>This Inner Loop Header: Depth=1
	v_sub_u32_e32 v6, v4, v12
	v_lshrrev_b32_e32 v6, 1, v6
	v_add_u32_e32 v6, v6, v12
	v_lshl_add_u32 v8, v6, 3, v3
	v_not_b32_e32 v9, v6
	v_lshl_add_u32 v9, v9, 3, v5
	ds_read_b32 v10, v8
	ds_read_b32 v13, v9 offset:256
	s_or_b64 s[4:5], s[4:5], exec
	s_waitcnt lgkmcnt(0)
	v_cmp_nlt_f32_e32 vcc, v13, v10
	s_and_saveexec_b64 s[6:7], vcc
	s_cbranch_execz .LBB25_159
; %bb.161:                              ;   in Loop: Header=BB25_160 Depth=1
	v_cmp_eq_f32_e32 vcc, v13, v10
	s_mov_b64 s[8:9], 0
	s_and_saveexec_b64 s[10:11], vcc
	s_cbranch_execz .LBB25_158
; %bb.162:                              ;   in Loop: Header=BB25_160 Depth=1
	ds_read_b32 v9, v9 offset:260
	ds_read_b32 v8, v8 offset:4
	s_waitcnt lgkmcnt(0)
	v_cmp_lt_f32_e32 vcc, v9, v8
	s_and_b64 s[8:9], vcc, exec
	s_branch .LBB25_158
.LBB25_163:
	s_or_b64 exec, exec, s[2:3]
.LBB25_164:
	s_or_b64 exec, exec, s[0:1]
	v_lshl_add_u32 v10, v12, 3, v3
	v_add_u32_e32 v3, v11, v7
	v_sub_u32_e32 v3, v3, v12
	v_lshl_add_u32 v14, v3, 3, v0
	ds_read_b64 v[3:4], v14 offset:256
	ds_read_b64 v[5:6], v10
	v_add_u32_e32 v7, v21, v7
	v_add_u32_e32 v22, 64, v11
	v_sub_u32_e32 v13, v7, v12
	s_waitcnt lgkmcnt(1)
	v_mov_b32_e32 v7, v3
	v_mov_b32_e32 v8, v4
	v_cmp_gt_i32_e32 vcc, v22, v13
	s_mov_b64 s[2:3], 0
	s_and_saveexec_b64 s[4:5], vcc
	s_cbranch_execz .LBB25_170
; %bb.165:
	v_cmp_gt_i32_e32 vcc, 32, v12
	s_waitcnt lgkmcnt(0)
	v_cmp_nlt_f32_e64 s[0:1], v3, v5
	s_and_b64 s[6:7], vcc, s[0:1]
	s_mov_b64 s[2:3], -1
	s_and_saveexec_b64 s[0:1], s[6:7]
	s_cbranch_execz .LBB25_169
; %bb.166:
	v_cmp_eq_f32_e32 vcc, v3, v5
	s_mov_b64 s[2:3], 0
	s_and_saveexec_b64 s[6:7], vcc
; %bb.167:
	v_cmp_lt_f32_e32 vcc, v4, v6
	s_and_b64 s[2:3], vcc, exec
; %bb.168:
	s_or_b64 exec, exec, s[6:7]
	s_orn2_b64 s[2:3], s[2:3], exec
.LBB25_169:
	s_or_b64 exec, exec, s[0:1]
	s_and_b64 s[2:3], s[2:3], exec
.LBB25_170:
	s_or_b64 exec, exec, s[4:5]
	s_xor_b64 s[0:1], s[2:3], -1
                                        ; implicit-def: $vgpr9
	s_and_saveexec_b64 s[4:5], s[0:1]
	s_xor_b64 s[0:1], exec, s[4:5]
; %bb.171:
	ds_read_b64 v[9:10], v10 offset:8
                                        ; implicit-def: $vgpr14
; %bb.172:
	s_andn2_saveexec_b64 s[0:1], s[0:1]
	s_cbranch_execz .LBB25_174
; %bb.173:
	ds_read_b64 v[7:8], v14 offset:264
	s_waitcnt lgkmcnt(1)
	v_mov_b32_e32 v10, v6
	v_mov_b32_e32 v9, v5
.LBB25_174:
	s_or_b64 exec, exec, s[0:1]
	v_add_u32_e32 v11, v12, v11
	v_add_u32_e32 v12, 1, v13
	;; [unrolled: 1-line block ×3, first 2 shown]
	v_cndmask_b32_e64 v15, v13, v12, s[2:3]
	v_cndmask_b32_e64 v16, v14, v11, s[2:3]
	v_cmp_lt_i32_e32 vcc, v15, v22
	s_mov_b64 s[4:5], 0
	s_and_saveexec_b64 s[6:7], vcc
	s_cbranch_execz .LBB25_180
; %bb.175:
	v_cmp_lt_i32_e32 vcc, v16, v21
	s_waitcnt lgkmcnt(0)
	v_cmp_nlt_f32_e64 s[0:1], v7, v9
	s_and_b64 s[8:9], vcc, s[0:1]
	s_mov_b64 s[4:5], -1
	s_and_saveexec_b64 s[0:1], s[8:9]
	s_cbranch_execz .LBB25_179
; %bb.176:
	v_cmp_eq_f32_e32 vcc, v7, v9
	s_mov_b64 s[4:5], 0
	s_and_saveexec_b64 s[8:9], vcc
; %bb.177:
	v_cmp_lt_f32_e32 vcc, v8, v10
	s_and_b64 s[4:5], vcc, exec
; %bb.178:
	s_or_b64 exec, exec, s[8:9]
	s_orn2_b64 s[4:5], s[4:5], exec
.LBB25_179:
	s_or_b64 exec, exec, s[0:1]
	s_and_b64 s[4:5], s[4:5], exec
.LBB25_180:
	s_or_b64 exec, exec, s[6:7]
	s_xor_b64 s[0:1], s[4:5], -1
                                        ; implicit-def: $vgpr11
	s_and_saveexec_b64 s[6:7], s[0:1]
	s_xor_b64 s[0:1], exec, s[6:7]
; %bb.181:
	v_lshl_add_u32 v11, v16, 3, v0
	ds_read_b64 v[11:12], v11 offset:8
; %bb.182:
	s_or_saveexec_b64 s[0:1], s[0:1]
	s_waitcnt lgkmcnt(0)
	v_mov_b32_e32 v13, v7
	v_mov_b32_e32 v14, v8
	s_xor_b64 exec, exec, s[0:1]
; %bb.183:
	v_lshl_add_u32 v11, v15, 3, v0
	ds_read_b64 v[13:14], v11 offset:8
	v_mov_b32_e32 v12, v10
	v_mov_b32_e32 v11, v9
; %bb.184:
	s_or_b64 exec, exec, s[0:1]
	v_add_u32_e32 v17, 1, v15
	v_add_u32_e32 v18, 1, v16
	v_cndmask_b32_e64 v24, v15, v17, s[4:5]
	v_cndmask_b32_e64 v23, v18, v16, s[4:5]
	v_cmp_lt_i32_e32 vcc, v24, v22
	s_mov_b64 s[6:7], 0
	s_and_saveexec_b64 s[8:9], vcc
	s_cbranch_execz .LBB25_190
; %bb.185:
	v_cmp_lt_i32_e32 vcc, v23, v21
	s_waitcnt lgkmcnt(0)
	v_cmp_nlt_f32_e64 s[0:1], v13, v11
	s_and_b64 s[10:11], vcc, s[0:1]
	s_mov_b64 s[6:7], -1
	s_and_saveexec_b64 s[0:1], s[10:11]
	s_cbranch_execz .LBB25_189
; %bb.186:
	v_cmp_eq_f32_e32 vcc, v13, v11
	s_mov_b64 s[6:7], 0
	s_and_saveexec_b64 s[10:11], vcc
; %bb.187:
	v_cmp_lt_f32_e32 vcc, v14, v12
	s_and_b64 s[6:7], vcc, exec
; %bb.188:
	s_or_b64 exec, exec, s[10:11]
	s_orn2_b64 s[6:7], s[6:7], exec
.LBB25_189:
	s_or_b64 exec, exec, s[0:1]
	s_and_b64 s[6:7], s[6:7], exec
.LBB25_190:
	s_or_b64 exec, exec, s[8:9]
	s_xor_b64 s[0:1], s[6:7], -1
                                        ; implicit-def: $vgpr15
	s_and_saveexec_b64 s[8:9], s[0:1]
	s_xor_b64 s[0:1], exec, s[8:9]
; %bb.191:
	v_lshl_add_u32 v15, v23, 3, v0
	ds_read_b64 v[15:16], v15 offset:8
; %bb.192:
	s_or_saveexec_b64 s[0:1], s[0:1]
	s_waitcnt lgkmcnt(0)
	v_mov_b32_e32 v17, v13
	v_mov_b32_e32 v18, v14
	s_xor_b64 exec, exec, s[0:1]
; %bb.193:
	v_lshl_add_u32 v15, v24, 3, v0
	ds_read_b64 v[17:18], v15 offset:8
	v_mov_b32_e32 v16, v12
	v_mov_b32_e32 v15, v11
; %bb.194:
	s_or_b64 exec, exec, s[0:1]
	v_add_u32_e32 v25, 1, v24
	v_cndmask_b32_e64 v24, v24, v25, s[6:7]
	v_cmp_lt_i32_e32 vcc, v24, v22
	s_mov_b64 s[0:1], 0
	s_and_saveexec_b64 s[8:9], vcc
	s_cbranch_execz .LBB25_200
; %bb.195:
	v_add_u32_e32 v22, 1, v23
	v_cndmask_b32_e64 v22, v22, v23, s[6:7]
	v_cmp_lt_i32_e32 vcc, v22, v21
	s_waitcnt lgkmcnt(0)
	v_cmp_nlt_f32_e64 s[0:1], v17, v15
	s_and_b64 s[12:13], vcc, s[0:1]
	s_mov_b64 s[10:11], -1
	s_and_saveexec_b64 s[0:1], s[12:13]
	s_cbranch_execz .LBB25_199
; %bb.196:
	v_cmp_eq_f32_e32 vcc, v17, v15
	s_mov_b64 s[10:11], 0
	s_and_saveexec_b64 s[12:13], vcc
; %bb.197:
	v_cmp_lt_f32_e32 vcc, v18, v16
	s_and_b64 s[10:11], vcc, exec
; %bb.198:
	s_or_b64 exec, exec, s[12:13]
	s_orn2_b64 s[10:11], s[10:11], exec
.LBB25_199:
	s_or_b64 exec, exec, s[0:1]
	s_and_b64 s[0:1], s[10:11], exec
.LBB25_200:
	s_or_b64 exec, exec, s[8:9]
	v_cndmask_b32_e64 v11, v11, v13, s[6:7]
	v_cndmask_b32_e64 v7, v9, v7, s[4:5]
	;; [unrolled: 1-line block ×6, first 2 shown]
	s_waitcnt lgkmcnt(0)
	v_cndmask_b32_e64 v5, v15, v17, s[0:1]
	v_cndmask_b32_e64 v6, v16, v18, s[0:1]
	; wave barrier
	ds_write2_b64 v20, v[3:4], v[7:8] offset1:1
	ds_write2_b64 v20, v[11:12], v[5:6] offset0:2 offset1:3
	v_sub_u32_e64 v11, v19, 64 clamp
	v_min_i32_e32 v3, 64, v19
	v_cmp_lt_u32_e32 vcc, v11, v3
	; wave barrier
	s_and_saveexec_b64 s[0:1], vcc
	s_cbranch_execz .LBB25_208
; %bb.201:
	s_mov_b64 s[2:3], 0
                                        ; implicit-def: $sgpr4_sgpr5
	s_branch .LBB25_204
.LBB25_202:                             ;   in Loop: Header=BB25_204 Depth=1
	s_or_b64 exec, exec, s[10:11]
	s_andn2_b64 s[4:5], s[4:5], exec
	s_and_b64 s[8:9], s[8:9], exec
	s_or_b64 s[4:5], s[4:5], s[8:9]
.LBB25_203:                             ;   in Loop: Header=BB25_204 Depth=1
	s_or_b64 exec, exec, s[6:7]
	v_add_u32_e32 v5, 1, v4
	v_cndmask_b32_e64 v3, v3, v4, s[4:5]
	v_cndmask_b32_e64 v11, v5, v11, s[4:5]
	v_cmp_ge_i32_e32 vcc, v11, v3
	s_or_b64 s[2:3], vcc, s[2:3]
	s_andn2_b64 exec, exec, s[2:3]
	s_cbranch_execz .LBB25_207
.LBB25_204:                             ; =>This Inner Loop Header: Depth=1
	v_sub_u32_e32 v4, v3, v11
	v_lshrrev_b32_e32 v4, 1, v4
	v_add_u32_e32 v4, v4, v11
	v_lshl_add_u32 v5, v4, 3, v0
	v_not_b32_e32 v6, v4
	v_lshl_add_u32 v6, v6, 3, v20
	ds_read_b32 v7, v5
	ds_read_b32 v8, v6 offset:512
	s_or_b64 s[4:5], s[4:5], exec
	s_waitcnt lgkmcnt(0)
	v_cmp_nlt_f32_e32 vcc, v8, v7
	s_and_saveexec_b64 s[6:7], vcc
	s_cbranch_execz .LBB25_203
; %bb.205:                              ;   in Loop: Header=BB25_204 Depth=1
	v_cmp_eq_f32_e32 vcc, v8, v7
	s_mov_b64 s[8:9], 0
	s_and_saveexec_b64 s[10:11], vcc
	s_cbranch_execz .LBB25_202
; %bb.206:                              ;   in Loop: Header=BB25_204 Depth=1
	ds_read_b32 v6, v6 offset:516
	ds_read_b32 v5, v5 offset:4
	s_waitcnt lgkmcnt(0)
	v_cmp_lt_f32_e32 vcc, v6, v5
	s_and_b64 s[8:9], vcc, exec
	s_branch .LBB25_202
.LBB25_207:
	s_or_b64 exec, exec, s[2:3]
.LBB25_208:
	s_or_b64 exec, exec, s[0:1]
	v_sub_u32_e32 v7, v19, v11
	v_lshl_add_u32 v13, v7, 3, v0
	ds_read_b64 v[3:4], v13 offset:512
	v_lshl_add_u32 v10, v11, 3, v0
	ds_read_b64 v[5:6], v10
	v_add_u32_e32 v12, 64, v7
	s_movk_i32 s0, 0x80
	s_waitcnt lgkmcnt(1)
	v_mov_b32_e32 v7, v3
	v_mov_b32_e32 v8, v4
	v_cmp_gt_i32_e32 vcc, s0, v12
	s_mov_b64 s[2:3], 0
	s_and_saveexec_b64 s[4:5], vcc
	s_cbranch_execz .LBB25_214
; %bb.209:
	v_cmp_gt_i32_e32 vcc, 64, v11
	s_waitcnt lgkmcnt(0)
	v_cmp_nlt_f32_e64 s[0:1], v3, v5
	s_and_b64 s[6:7], vcc, s[0:1]
	s_mov_b64 s[2:3], -1
	s_and_saveexec_b64 s[0:1], s[6:7]
	s_cbranch_execz .LBB25_213
; %bb.210:
	v_cmp_eq_f32_e32 vcc, v3, v5
	s_mov_b64 s[2:3], 0
	s_and_saveexec_b64 s[6:7], vcc
; %bb.211:
	v_cmp_lt_f32_e32 vcc, v4, v6
	s_and_b64 s[2:3], vcc, exec
; %bb.212:
	s_or_b64 exec, exec, s[6:7]
	s_orn2_b64 s[2:3], s[2:3], exec
.LBB25_213:
	s_or_b64 exec, exec, s[0:1]
	s_and_b64 s[2:3], s[2:3], exec
.LBB25_214:
	s_or_b64 exec, exec, s[4:5]
	s_xor_b64 s[0:1], s[2:3], -1
                                        ; implicit-def: $vgpr9
	s_and_saveexec_b64 s[4:5], s[0:1]
	s_xor_b64 s[0:1], exec, s[4:5]
; %bb.215:
	ds_read_b64 v[9:10], v10 offset:8
                                        ; implicit-def: $vgpr13
; %bb.216:
	s_andn2_saveexec_b64 s[0:1], s[0:1]
	s_cbranch_execz .LBB25_218
; %bb.217:
	ds_read_b64 v[7:8], v13 offset:520
	s_waitcnt lgkmcnt(1)
	v_mov_b32_e32 v10, v6
	v_mov_b32_e32 v9, v5
.LBB25_218:
	s_or_b64 exec, exec, s[0:1]
	v_add_u32_e32 v13, 1, v12
	v_add_u32_e32 v14, 1, v11
	v_cndmask_b32_e64 v15, v12, v13, s[2:3]
	s_movk_i32 s0, 0x80
	v_cndmask_b32_e64 v16, v14, v11, s[2:3]
	v_cmp_gt_i32_e32 vcc, s0, v15
	s_mov_b64 s[4:5], 0
	s_and_saveexec_b64 s[6:7], vcc
	s_cbranch_execz .LBB25_224
; %bb.219:
	v_cmp_gt_i32_e32 vcc, 64, v16
	s_waitcnt lgkmcnt(0)
	v_cmp_nlt_f32_e64 s[0:1], v7, v9
	s_and_b64 s[8:9], vcc, s[0:1]
	s_mov_b64 s[4:5], -1
	s_and_saveexec_b64 s[0:1], s[8:9]
	s_cbranch_execz .LBB25_223
; %bb.220:
	v_cmp_eq_f32_e32 vcc, v7, v9
	s_mov_b64 s[4:5], 0
	s_and_saveexec_b64 s[8:9], vcc
; %bb.221:
	v_cmp_lt_f32_e32 vcc, v8, v10
	s_and_b64 s[4:5], vcc, exec
; %bb.222:
	s_or_b64 exec, exec, s[8:9]
	s_orn2_b64 s[4:5], s[4:5], exec
.LBB25_223:
	s_or_b64 exec, exec, s[0:1]
	s_and_b64 s[4:5], s[4:5], exec
.LBB25_224:
	s_or_b64 exec, exec, s[6:7]
	s_xor_b64 s[0:1], s[4:5], -1
                                        ; implicit-def: $vgpr11
	s_and_saveexec_b64 s[6:7], s[0:1]
	s_xor_b64 s[0:1], exec, s[6:7]
; %bb.225:
	v_lshl_add_u32 v11, v16, 3, v0
	ds_read_b64 v[11:12], v11 offset:8
; %bb.226:
	s_or_saveexec_b64 s[0:1], s[0:1]
	s_waitcnt lgkmcnt(0)
	v_mov_b32_e32 v13, v7
	v_mov_b32_e32 v14, v8
	s_xor_b64 exec, exec, s[0:1]
; %bb.227:
	v_lshl_add_u32 v11, v15, 3, v0
	ds_read_b64 v[13:14], v11 offset:8
	v_mov_b32_e32 v12, v10
	v_mov_b32_e32 v11, v9
; %bb.228:
	s_or_b64 exec, exec, s[0:1]
	v_add_u32_e32 v17, 1, v15
	v_add_u32_e32 v18, 1, v16
	v_cndmask_b32_e64 v20, v15, v17, s[4:5]
	s_movk_i32 s0, 0x80
	v_cndmask_b32_e64 v19, v18, v16, s[4:5]
	v_cmp_gt_i32_e32 vcc, s0, v20
	s_mov_b64 s[6:7], 0
	s_and_saveexec_b64 s[8:9], vcc
	s_cbranch_execz .LBB25_234
; %bb.229:
	v_cmp_gt_i32_e32 vcc, 64, v19
	s_waitcnt lgkmcnt(0)
	v_cmp_nlt_f32_e64 s[0:1], v13, v11
	s_and_b64 s[10:11], vcc, s[0:1]
	s_mov_b64 s[6:7], -1
	s_and_saveexec_b64 s[0:1], s[10:11]
	s_cbranch_execz .LBB25_233
; %bb.230:
	v_cmp_eq_f32_e32 vcc, v13, v11
	s_mov_b64 s[6:7], 0
	s_and_saveexec_b64 s[10:11], vcc
; %bb.231:
	v_cmp_lt_f32_e32 vcc, v14, v12
	s_and_b64 s[6:7], vcc, exec
; %bb.232:
	s_or_b64 exec, exec, s[10:11]
	s_orn2_b64 s[6:7], s[6:7], exec
.LBB25_233:
	s_or_b64 exec, exec, s[0:1]
	s_and_b64 s[6:7], s[6:7], exec
.LBB25_234:
	s_or_b64 exec, exec, s[8:9]
	s_xor_b64 s[0:1], s[6:7], -1
                                        ; implicit-def: $vgpr15
	s_and_saveexec_b64 s[8:9], s[0:1]
	s_xor_b64 s[0:1], exec, s[8:9]
; %bb.235:
	v_lshl_add_u32 v0, v19, 3, v0
	ds_read_b64 v[15:16], v0 offset:8
                                        ; implicit-def: $vgpr0
; %bb.236:
	s_or_saveexec_b64 s[0:1], s[0:1]
	s_waitcnt lgkmcnt(0)
	v_mov_b32_e32 v17, v13
	v_mov_b32_e32 v18, v14
	s_xor_b64 exec, exec, s[0:1]
; %bb.237:
	v_lshl_add_u32 v0, v20, 3, v0
	ds_read_b64 v[17:18], v0 offset:8
	v_mov_b32_e32 v16, v12
	v_mov_b32_e32 v15, v11
; %bb.238:
	s_or_b64 exec, exec, s[0:1]
	v_add_u32_e32 v0, 1, v20
	v_cndmask_b32_e64 v0, v20, v0, s[6:7]
	s_movk_i32 s0, 0x80
	v_cmp_gt_i32_e32 vcc, s0, v0
	s_mov_b64 s[0:1], 0
	s_and_saveexec_b64 s[8:9], vcc
	s_cbranch_execz .LBB25_244
; %bb.239:
	v_add_u32_e32 v0, 1, v19
	v_cndmask_b32_e64 v0, v0, v19, s[6:7]
	v_cmp_gt_i32_e32 vcc, 64, v0
	s_waitcnt lgkmcnt(0)
	v_cmp_nlt_f32_e64 s[0:1], v17, v15
	s_and_b64 s[12:13], vcc, s[0:1]
	s_mov_b64 s[10:11], -1
	s_and_saveexec_b64 s[0:1], s[12:13]
	s_cbranch_execz .LBB25_243
; %bb.240:
	v_cmp_eq_f32_e32 vcc, v17, v15
	s_mov_b64 s[10:11], 0
	s_and_saveexec_b64 s[12:13], vcc
; %bb.241:
	v_cmp_lt_f32_e32 vcc, v18, v16
	s_and_b64 s[10:11], vcc, exec
; %bb.242:
	s_or_b64 exec, exec, s[12:13]
	s_orn2_b64 s[10:11], s[10:11], exec
.LBB25_243:
	s_or_b64 exec, exec, s[0:1]
	s_and_b64 s[0:1], s[10:11], exec
.LBB25_244:
	s_or_b64 exec, exec, s[8:9]
	v_cndmask_b32_e64 v8, v10, v8, s[4:5]
	v_cndmask_b32_e64 v7, v9, v7, s[4:5]
	v_cndmask_b32_e64 v6, v6, v4, s[2:3]
	v_cndmask_b32_e64 v5, v5, v3, s[2:3]
	v_cndmask_b32_e64 v12, v12, v14, s[6:7]
	v_cndmask_b32_e64 v11, v11, v13, s[6:7]
	s_waitcnt lgkmcnt(0)
	v_cndmask_b32_e64 v13, v15, v17, s[0:1]
	v_cndmask_b32_e64 v14, v16, v18, s[0:1]
	global_store_dwordx4 v[1:2], v[5:8], off
	global_store_dwordx4 v[1:2], v[11:14], off offset:16
	s_endpgm
	.section	.rodata,"a",@progbits
	.p2align	6, 0x0
	.amdhsa_kernel _Z14sort_keys_fullILj256ELj32ELj4ELb0EN10test_utils16custom_test_typeIfEENS0_4lessEEvPT3_T4_
		.amdhsa_group_segment_fixed_size 8256
		.amdhsa_private_segment_fixed_size 0
		.amdhsa_kernarg_size 12
		.amdhsa_user_sgpr_count 6
		.amdhsa_user_sgpr_private_segment_buffer 1
		.amdhsa_user_sgpr_dispatch_ptr 0
		.amdhsa_user_sgpr_queue_ptr 0
		.amdhsa_user_sgpr_kernarg_segment_ptr 1
		.amdhsa_user_sgpr_dispatch_id 0
		.amdhsa_user_sgpr_flat_scratch_init 0
		.amdhsa_user_sgpr_private_segment_size 0
		.amdhsa_uses_dynamic_stack 0
		.amdhsa_system_sgpr_private_segment_wavefront_offset 0
		.amdhsa_system_sgpr_workgroup_id_x 1
		.amdhsa_system_sgpr_workgroup_id_y 0
		.amdhsa_system_sgpr_workgroup_id_z 0
		.amdhsa_system_sgpr_workgroup_info 0
		.amdhsa_system_vgpr_workitem_id 0
		.amdhsa_next_free_vgpr 33
		.amdhsa_next_free_sgpr 77
		.amdhsa_reserve_vcc 1
		.amdhsa_reserve_flat_scratch 0
		.amdhsa_float_round_mode_32 0
		.amdhsa_float_round_mode_16_64 0
		.amdhsa_float_denorm_mode_32 3
		.amdhsa_float_denorm_mode_16_64 3
		.amdhsa_dx10_clamp 1
		.amdhsa_ieee_mode 1
		.amdhsa_fp16_overflow 0
		.amdhsa_exception_fp_ieee_invalid_op 0
		.amdhsa_exception_fp_denorm_src 0
		.amdhsa_exception_fp_ieee_div_zero 0
		.amdhsa_exception_fp_ieee_overflow 0
		.amdhsa_exception_fp_ieee_underflow 0
		.amdhsa_exception_fp_ieee_inexact 0
		.amdhsa_exception_int_div_zero 0
	.end_amdhsa_kernel
	.section	.text._Z14sort_keys_fullILj256ELj32ELj4ELb0EN10test_utils16custom_test_typeIfEENS0_4lessEEvPT3_T4_,"axG",@progbits,_Z14sort_keys_fullILj256ELj32ELj4ELb0EN10test_utils16custom_test_typeIfEENS0_4lessEEvPT3_T4_,comdat
.Lfunc_end25:
	.size	_Z14sort_keys_fullILj256ELj32ELj4ELb0EN10test_utils16custom_test_typeIfEENS0_4lessEEvPT3_T4_, .Lfunc_end25-_Z14sort_keys_fullILj256ELj32ELj4ELb0EN10test_utils16custom_test_typeIfEENS0_4lessEEvPT3_T4_
                                        ; -- End function
	.set _Z14sort_keys_fullILj256ELj32ELj4ELb0EN10test_utils16custom_test_typeIfEENS0_4lessEEvPT3_T4_.num_vgpr, 27
	.set _Z14sort_keys_fullILj256ELj32ELj4ELb0EN10test_utils16custom_test_typeIfEENS0_4lessEEvPT3_T4_.num_agpr, 0
	.set _Z14sort_keys_fullILj256ELj32ELj4ELb0EN10test_utils16custom_test_typeIfEENS0_4lessEEvPT3_T4_.numbered_sgpr, 14
	.set _Z14sort_keys_fullILj256ELj32ELj4ELb0EN10test_utils16custom_test_typeIfEENS0_4lessEEvPT3_T4_.num_named_barrier, 0
	.set _Z14sort_keys_fullILj256ELj32ELj4ELb0EN10test_utils16custom_test_typeIfEENS0_4lessEEvPT3_T4_.private_seg_size, 0
	.set _Z14sort_keys_fullILj256ELj32ELj4ELb0EN10test_utils16custom_test_typeIfEENS0_4lessEEvPT3_T4_.uses_vcc, 1
	.set _Z14sort_keys_fullILj256ELj32ELj4ELb0EN10test_utils16custom_test_typeIfEENS0_4lessEEvPT3_T4_.uses_flat_scratch, 0
	.set _Z14sort_keys_fullILj256ELj32ELj4ELb0EN10test_utils16custom_test_typeIfEENS0_4lessEEvPT3_T4_.has_dyn_sized_stack, 0
	.set _Z14sort_keys_fullILj256ELj32ELj4ELb0EN10test_utils16custom_test_typeIfEENS0_4lessEEvPT3_T4_.has_recursion, 0
	.set _Z14sort_keys_fullILj256ELj32ELj4ELb0EN10test_utils16custom_test_typeIfEENS0_4lessEEvPT3_T4_.has_indirect_call, 0
	.section	.AMDGPU.csdata,"",@progbits
; Kernel info:
; codeLenInByte = 5724
; TotalNumSgprs: 18
; NumVgprs: 27
; ScratchSize: 0
; MemoryBound: 0
; FloatMode: 240
; IeeeMode: 1
; LDSByteSize: 8256 bytes/workgroup (compile time only)
; SGPRBlocks: 10
; VGPRBlocks: 8
; NumSGPRsForWavesPerEU: 81
; NumVGPRsForWavesPerEU: 33
; Occupancy: 7
; WaveLimiterHint : 0
; COMPUTE_PGM_RSRC2:SCRATCH_EN: 0
; COMPUTE_PGM_RSRC2:USER_SGPR: 6
; COMPUTE_PGM_RSRC2:TRAP_HANDLER: 0
; COMPUTE_PGM_RSRC2:TGID_X_EN: 1
; COMPUTE_PGM_RSRC2:TGID_Y_EN: 0
; COMPUTE_PGM_RSRC2:TGID_Z_EN: 0
; COMPUTE_PGM_RSRC2:TIDIG_COMP_CNT: 0
	.section	.text._Z14sort_keys_fullILj256ELj32ELj2ELb0EN10test_utils16custom_test_typeIfEENS0_4lessEEvPT3_T4_,"axG",@progbits,_Z14sort_keys_fullILj256ELj32ELj2ELb0EN10test_utils16custom_test_typeIfEENS0_4lessEEvPT3_T4_,comdat
	.protected	_Z14sort_keys_fullILj256ELj32ELj2ELb0EN10test_utils16custom_test_typeIfEENS0_4lessEEvPT3_T4_ ; -- Begin function _Z14sort_keys_fullILj256ELj32ELj2ELb0EN10test_utils16custom_test_typeIfEENS0_4lessEEvPT3_T4_
	.globl	_Z14sort_keys_fullILj256ELj32ELj2ELb0EN10test_utils16custom_test_typeIfEENS0_4lessEEvPT3_T4_
	.p2align	8
	.type	_Z14sort_keys_fullILj256ELj32ELj2ELb0EN10test_utils16custom_test_typeIfEENS0_4lessEEvPT3_T4_,@function
_Z14sort_keys_fullILj256ELj32ELj2ELb0EN10test_utils16custom_test_typeIfEENS0_4lessEEvPT3_T4_: ; @_Z14sort_keys_fullILj256ELj32ELj2ELb0EN10test_utils16custom_test_typeIfEENS0_4lessEEvPT3_T4_
; %bb.0:
	s_load_dwordx2 s[0:1], s[4:5], 0x0
	s_lshl_b32 s2, s6, 9
	s_mov_b32 s3, 0
	s_lshl_b64 s[2:3], s[2:3], 3
	v_lshlrev_b32_e32 v5, 4, v0
	s_waitcnt lgkmcnt(0)
	s_add_u32 s2, s0, s2
	s_addc_u32 s3, s1, s3
	global_load_dwordx4 v[1:4], v5, s[2:3]
	s_waitcnt vmcnt(0)
	v_cmp_lt_f32_e64 s[4:5], v3, v1
	v_cmp_nlt_f32_e32 vcc, v3, v1
	s_and_saveexec_b64 s[6:7], vcc
; %bb.1:
	v_cmp_eq_f32_e32 vcc, v3, v1
	v_cmp_lt_f32_e64 s[0:1], v4, v2
	s_and_b64 s[0:1], vcc, s[0:1]
	s_andn2_b64 s[4:5], s[4:5], exec
	s_and_b64 s[0:1], s[0:1], exec
	s_or_b64 s[4:5], s[4:5], s[0:1]
; %bb.2:
	s_or_b64 exec, exec, s[6:7]
	v_mov_b32_e32 v8, s3
	v_mov_b32_e32 v6, v4
	;; [unrolled: 1-line block ×3, first 2 shown]
	s_and_saveexec_b64 s[0:1], s[4:5]
; %bb.3:
	v_mov_b32_e32 v6, v2
	v_mov_b32_e32 v7, v1
	;; [unrolled: 1-line block ×4, first 2 shown]
; %bb.4:
	s_or_b64 exec, exec, s[0:1]
	v_add_co_u32_e32 v3, vcc, s2, v5
	v_mbcnt_lo_u32_b32 v5, -1, 0
	v_mbcnt_hi_u32_b32 v5, -1, v5
	v_lshlrev_b32_e32 v13, 1, v5
	v_and_b32_e32 v11, 62, v13
	v_lshrrev_b32_e32 v0, 5, v0
	s_movk_i32 s0, 0x208
	v_lshlrev_b32_e32 v5, 3, v11
	v_and_b32_e32 v16, 60, v13
	v_mad_u32_u24 v12, v0, s0, v5
	v_mov_b32_e32 v5, v7
	v_or_b32_e32 v15, 2, v16
	; wave barrier
	ds_write2_b64 v12, v[1:2], v[5:6] offset1:1
	v_and_b32_e32 v7, 2, v13
	v_sub_u32_e32 v2, v15, v16
	v_addc_co_u32_e32 v4, vcc, 0, v8, vcc
	v_lshlrev_b32_e32 v1, 3, v16
	v_min_i32_e32 v2, v7, v2
	v_mov_b32_e32 v14, 0
	v_mad_u32_u24 v1, v0, s0, v1
	v_cmp_lt_i32_e32 vcc, 0, v2
	; wave barrier
	s_and_saveexec_b64 s[0:1], vcc
	s_cbranch_execz .LBB26_12
; %bb.5:
	v_lshl_add_u32 v5, v7, 3, v1
	v_mov_b32_e32 v14, 0
	s_mov_b64 s[2:3], 0
                                        ; implicit-def: $sgpr4_sgpr5
	s_branch .LBB26_8
.LBB26_6:                               ;   in Loop: Header=BB26_8 Depth=1
	s_or_b64 exec, exec, s[10:11]
	s_andn2_b64 s[4:5], s[4:5], exec
	s_and_b64 s[8:9], s[8:9], exec
	s_or_b64 s[4:5], s[4:5], s[8:9]
.LBB26_7:                               ;   in Loop: Header=BB26_8 Depth=1
	s_or_b64 exec, exec, s[6:7]
	v_add_u32_e32 v8, 1, v6
	v_cndmask_b32_e64 v2, v2, v6, s[4:5]
	v_cndmask_b32_e64 v14, v8, v14, s[4:5]
	v_cmp_ge_i32_e32 vcc, v14, v2
	s_or_b64 s[2:3], vcc, s[2:3]
	s_andn2_b64 exec, exec, s[2:3]
	s_cbranch_execz .LBB26_11
.LBB26_8:                               ; =>This Inner Loop Header: Depth=1
	v_sub_u32_e32 v6, v2, v14
	v_lshrrev_b32_e32 v6, 1, v6
	v_add_u32_e32 v6, v6, v14
	v_lshl_add_u32 v8, v6, 3, v1
	v_not_b32_e32 v9, v6
	v_lshl_add_u32 v9, v9, 3, v5
	ds_read_b32 v10, v8
	ds_read_b32 v17, v9 offset:16
	s_or_b64 s[4:5], s[4:5], exec
	s_waitcnt lgkmcnt(0)
	v_cmp_nlt_f32_e32 vcc, v17, v10
	s_and_saveexec_b64 s[6:7], vcc
	s_cbranch_execz .LBB26_7
; %bb.9:                                ;   in Loop: Header=BB26_8 Depth=1
	v_cmp_eq_f32_e32 vcc, v17, v10
	s_mov_b64 s[8:9], 0
	s_and_saveexec_b64 s[10:11], vcc
	s_cbranch_execz .LBB26_6
; %bb.10:                               ;   in Loop: Header=BB26_8 Depth=1
	ds_read_b32 v9, v9 offset:20
	ds_read_b32 v8, v8 offset:4
	s_waitcnt lgkmcnt(0)
	v_cmp_lt_f32_e32 vcc, v9, v8
	s_and_b64 s[8:9], vcc, exec
	s_branch .LBB26_6
.LBB26_11:
	s_or_b64 exec, exec, s[2:3]
.LBB26_12:
	s_or_b64 exec, exec, s[0:1]
	v_mul_u32_u24_e32 v2, 0x208, v0
	v_add_u32_e32 v0, v16, v7
	v_sub_u32_e32 v0, v0, v14
	v_lshl_add_u32 v19, v0, 3, v2
	v_lshl_add_u32 v10, v14, 3, v1
	ds_read_b64 v[0:1], v19 offset:16
	ds_read_b64 v[5:6], v10
	v_add_u32_e32 v7, v15, v7
	v_add_u32_e32 v17, 4, v16
	v_sub_u32_e32 v18, v7, v14
	s_waitcnt lgkmcnt(1)
	v_mov_b32_e32 v7, v0
	v_mov_b32_e32 v8, v1
	v_cmp_gt_i32_e32 vcc, v17, v18
	s_mov_b64 s[2:3], 0
	s_and_saveexec_b64 s[4:5], vcc
	s_cbranch_execz .LBB26_18
; %bb.13:
	v_cmp_gt_i32_e32 vcc, 2, v14
	s_waitcnt lgkmcnt(0)
	v_cmp_nlt_f32_e64 s[0:1], v0, v5
	s_and_b64 s[6:7], vcc, s[0:1]
	s_mov_b64 s[2:3], -1
	s_and_saveexec_b64 s[0:1], s[6:7]
	s_cbranch_execz .LBB26_17
; %bb.14:
	v_cmp_eq_f32_e32 vcc, v0, v5
	s_mov_b64 s[2:3], 0
	s_and_saveexec_b64 s[6:7], vcc
; %bb.15:
	v_cmp_lt_f32_e32 vcc, v1, v6
	s_and_b64 s[2:3], vcc, exec
; %bb.16:
	s_or_b64 exec, exec, s[6:7]
	s_orn2_b64 s[2:3], s[2:3], exec
.LBB26_17:
	s_or_b64 exec, exec, s[0:1]
	s_and_b64 s[2:3], s[2:3], exec
.LBB26_18:
	s_or_b64 exec, exec, s[4:5]
	s_xor_b64 s[0:1], s[2:3], -1
                                        ; implicit-def: $vgpr9
	s_and_saveexec_b64 s[4:5], s[0:1]
	s_xor_b64 s[0:1], exec, s[4:5]
; %bb.19:
	ds_read_b64 v[9:10], v10 offset:8
                                        ; implicit-def: $vgpr19
; %bb.20:
	s_andn2_saveexec_b64 s[0:1], s[0:1]
	s_cbranch_execz .LBB26_22
; %bb.21:
	ds_read_b64 v[7:8], v19 offset:24
	s_waitcnt lgkmcnt(1)
	v_mov_b32_e32 v10, v6
	v_mov_b32_e32 v9, v5
.LBB26_22:
	s_or_b64 exec, exec, s[0:1]
	v_add_u32_e32 v19, 1, v18
	v_cndmask_b32_e64 v18, v18, v19, s[2:3]
	v_cmp_lt_i32_e32 vcc, v18, v17
	s_mov_b64 s[0:1], 0
	s_and_saveexec_b64 s[4:5], vcc
	s_cbranch_execz .LBB26_28
; %bb.23:
	v_add_u32_e32 v14, v14, v16
	v_add_u32_e32 v16, 1, v14
	v_cndmask_b32_e64 v14, v16, v14, s[2:3]
	v_cmp_lt_i32_e32 vcc, v14, v15
	s_waitcnt lgkmcnt(0)
	v_cmp_nlt_f32_e64 s[0:1], v7, v9
	s_and_b64 s[8:9], vcc, s[0:1]
	s_mov_b64 s[6:7], -1
	s_and_saveexec_b64 s[0:1], s[8:9]
	s_cbranch_execz .LBB26_27
; %bb.24:
	v_cmp_eq_f32_e32 vcc, v7, v9
	s_mov_b64 s[6:7], 0
	s_and_saveexec_b64 s[8:9], vcc
; %bb.25:
	v_cmp_lt_f32_e32 vcc, v8, v10
	s_and_b64 s[6:7], vcc, exec
; %bb.26:
	s_or_b64 exec, exec, s[8:9]
	s_orn2_b64 s[6:7], s[6:7], exec
.LBB26_27:
	s_or_b64 exec, exec, s[0:1]
	s_and_b64 s[0:1], s[6:7], exec
.LBB26_28:
	s_or_b64 exec, exec, s[4:5]
	v_and_b32_e32 v15, 56, v13
	s_waitcnt lgkmcnt(0)
	v_cndmask_b32_e64 v0, v5, v0, s[2:3]
	v_cndmask_b32_e64 v1, v6, v1, s[2:3]
	;; [unrolled: 1-line block ×4, first 2 shown]
	v_or_b32_e32 v14, 4, v15
	; wave barrier
	ds_write2_b64 v12, v[0:1], v[5:6] offset1:1
	v_and_b32_e32 v7, 6, v13
	v_sub_u32_e32 v1, v14, v15
	v_sub_u32_e64 v16, v7, 4 clamp
	v_min_i32_e32 v1, v7, v1
	v_lshl_add_u32 v0, v15, 3, v2
	v_cmp_lt_i32_e32 vcc, v16, v1
	; wave barrier
	s_and_saveexec_b64 s[0:1], vcc
	s_cbranch_execz .LBB26_36
; %bb.29:
	v_lshl_add_u32 v5, v7, 3, v0
	s_mov_b64 s[2:3], 0
                                        ; implicit-def: $sgpr4_sgpr5
	s_branch .LBB26_32
.LBB26_30:                              ;   in Loop: Header=BB26_32 Depth=1
	s_or_b64 exec, exec, s[10:11]
	s_andn2_b64 s[4:5], s[4:5], exec
	s_and_b64 s[8:9], s[8:9], exec
	s_or_b64 s[4:5], s[4:5], s[8:9]
.LBB26_31:                              ;   in Loop: Header=BB26_32 Depth=1
	s_or_b64 exec, exec, s[6:7]
	v_add_u32_e32 v8, 1, v6
	v_cndmask_b32_e64 v1, v1, v6, s[4:5]
	v_cndmask_b32_e64 v16, v8, v16, s[4:5]
	v_cmp_ge_i32_e32 vcc, v16, v1
	s_or_b64 s[2:3], vcc, s[2:3]
	s_andn2_b64 exec, exec, s[2:3]
	s_cbranch_execz .LBB26_35
.LBB26_32:                              ; =>This Inner Loop Header: Depth=1
	v_sub_u32_e32 v6, v1, v16
	v_lshrrev_b32_e32 v6, 1, v6
	v_add_u32_e32 v6, v6, v16
	v_lshl_add_u32 v8, v6, 3, v0
	v_not_b32_e32 v9, v6
	v_lshl_add_u32 v9, v9, 3, v5
	ds_read_b32 v10, v8
	ds_read_b32 v17, v9 offset:32
	s_or_b64 s[4:5], s[4:5], exec
	s_waitcnt lgkmcnt(0)
	v_cmp_nlt_f32_e32 vcc, v17, v10
	s_and_saveexec_b64 s[6:7], vcc
	s_cbranch_execz .LBB26_31
; %bb.33:                               ;   in Loop: Header=BB26_32 Depth=1
	v_cmp_eq_f32_e32 vcc, v17, v10
	s_mov_b64 s[8:9], 0
	s_and_saveexec_b64 s[10:11], vcc
	s_cbranch_execz .LBB26_30
; %bb.34:                               ;   in Loop: Header=BB26_32 Depth=1
	ds_read_b32 v9, v9 offset:36
	ds_read_b32 v8, v8 offset:4
	s_waitcnt lgkmcnt(0)
	v_cmp_lt_f32_e32 vcc, v9, v8
	s_and_b64 s[8:9], vcc, exec
	s_branch .LBB26_30
.LBB26_35:
	s_or_b64 exec, exec, s[2:3]
.LBB26_36:
	s_or_b64 exec, exec, s[0:1]
	v_lshl_add_u32 v10, v16, 3, v0
	v_add_u32_e32 v0, v15, v7
	v_sub_u32_e32 v0, v0, v16
	v_lshl_add_u32 v19, v0, 3, v2
	ds_read_b64 v[0:1], v19 offset:32
	ds_read_b64 v[5:6], v10
	v_add_u32_e32 v7, v14, v7
	v_add_u32_e32 v17, 8, v15
	v_sub_u32_e32 v18, v7, v16
	s_waitcnt lgkmcnt(1)
	v_mov_b32_e32 v7, v0
	v_mov_b32_e32 v8, v1
	v_cmp_gt_i32_e32 vcc, v17, v18
	s_mov_b64 s[2:3], 0
	s_and_saveexec_b64 s[4:5], vcc
	s_cbranch_execz .LBB26_42
; %bb.37:
	v_cmp_gt_i32_e32 vcc, 4, v16
	s_waitcnt lgkmcnt(0)
	v_cmp_nlt_f32_e64 s[0:1], v0, v5
	s_and_b64 s[6:7], vcc, s[0:1]
	s_mov_b64 s[2:3], -1
	s_and_saveexec_b64 s[0:1], s[6:7]
	s_cbranch_execz .LBB26_41
; %bb.38:
	v_cmp_eq_f32_e32 vcc, v0, v5
	s_mov_b64 s[2:3], 0
	s_and_saveexec_b64 s[6:7], vcc
; %bb.39:
	v_cmp_lt_f32_e32 vcc, v1, v6
	s_and_b64 s[2:3], vcc, exec
; %bb.40:
	s_or_b64 exec, exec, s[6:7]
	s_orn2_b64 s[2:3], s[2:3], exec
.LBB26_41:
	s_or_b64 exec, exec, s[0:1]
	s_and_b64 s[2:3], s[2:3], exec
.LBB26_42:
	s_or_b64 exec, exec, s[4:5]
	s_xor_b64 s[0:1], s[2:3], -1
                                        ; implicit-def: $vgpr9
	s_and_saveexec_b64 s[4:5], s[0:1]
	s_xor_b64 s[0:1], exec, s[4:5]
; %bb.43:
	ds_read_b64 v[9:10], v10 offset:8
                                        ; implicit-def: $vgpr19
; %bb.44:
	s_andn2_saveexec_b64 s[0:1], s[0:1]
	s_cbranch_execz .LBB26_46
; %bb.45:
	ds_read_b64 v[7:8], v19 offset:40
	s_waitcnt lgkmcnt(1)
	v_mov_b32_e32 v10, v6
	v_mov_b32_e32 v9, v5
.LBB26_46:
	s_or_b64 exec, exec, s[0:1]
	v_add_u32_e32 v19, 1, v18
	v_cndmask_b32_e64 v18, v18, v19, s[2:3]
	v_cmp_lt_i32_e32 vcc, v18, v17
	s_mov_b64 s[0:1], 0
	s_and_saveexec_b64 s[4:5], vcc
	s_cbranch_execz .LBB26_52
; %bb.47:
	v_add_u32_e32 v15, v16, v15
	v_add_u32_e32 v16, 1, v15
	v_cndmask_b32_e64 v15, v16, v15, s[2:3]
	v_cmp_lt_i32_e32 vcc, v15, v14
	s_waitcnt lgkmcnt(0)
	v_cmp_nlt_f32_e64 s[0:1], v7, v9
	s_and_b64 s[8:9], vcc, s[0:1]
	s_mov_b64 s[6:7], -1
	s_and_saveexec_b64 s[0:1], s[8:9]
	s_cbranch_execz .LBB26_51
; %bb.48:
	v_cmp_eq_f32_e32 vcc, v7, v9
	s_mov_b64 s[6:7], 0
	s_and_saveexec_b64 s[8:9], vcc
; %bb.49:
	v_cmp_lt_f32_e32 vcc, v8, v10
	s_and_b64 s[6:7], vcc, exec
; %bb.50:
	s_or_b64 exec, exec, s[8:9]
	s_orn2_b64 s[6:7], s[6:7], exec
.LBB26_51:
	s_or_b64 exec, exec, s[0:1]
	s_and_b64 s[0:1], s[6:7], exec
.LBB26_52:
	s_or_b64 exec, exec, s[4:5]
	v_and_b32_e32 v15, 48, v13
	s_waitcnt lgkmcnt(0)
	v_cndmask_b32_e64 v0, v5, v0, s[2:3]
	v_cndmask_b32_e64 v1, v6, v1, s[2:3]
	;; [unrolled: 1-line block ×4, first 2 shown]
	v_or_b32_e32 v14, 8, v15
	; wave barrier
	ds_write2_b64 v12, v[0:1], v[5:6] offset1:1
	v_and_b32_e32 v7, 14, v13
	v_sub_u32_e32 v1, v14, v15
	v_sub_u32_e64 v16, v7, 8 clamp
	v_min_i32_e32 v1, v7, v1
	v_lshl_add_u32 v0, v15, 3, v2
	v_cmp_lt_i32_e32 vcc, v16, v1
	; wave barrier
	s_and_saveexec_b64 s[0:1], vcc
	s_cbranch_execz .LBB26_60
; %bb.53:
	v_lshl_add_u32 v5, v7, 3, v0
	s_mov_b64 s[2:3], 0
                                        ; implicit-def: $sgpr4_sgpr5
	s_branch .LBB26_56
.LBB26_54:                              ;   in Loop: Header=BB26_56 Depth=1
	s_or_b64 exec, exec, s[10:11]
	s_andn2_b64 s[4:5], s[4:5], exec
	s_and_b64 s[8:9], s[8:9], exec
	s_or_b64 s[4:5], s[4:5], s[8:9]
.LBB26_55:                              ;   in Loop: Header=BB26_56 Depth=1
	s_or_b64 exec, exec, s[6:7]
	v_add_u32_e32 v8, 1, v6
	v_cndmask_b32_e64 v1, v1, v6, s[4:5]
	v_cndmask_b32_e64 v16, v8, v16, s[4:5]
	v_cmp_ge_i32_e32 vcc, v16, v1
	s_or_b64 s[2:3], vcc, s[2:3]
	s_andn2_b64 exec, exec, s[2:3]
	s_cbranch_execz .LBB26_59
.LBB26_56:                              ; =>This Inner Loop Header: Depth=1
	v_sub_u32_e32 v6, v1, v16
	v_lshrrev_b32_e32 v6, 1, v6
	v_add_u32_e32 v6, v6, v16
	v_lshl_add_u32 v8, v6, 3, v0
	v_not_b32_e32 v9, v6
	v_lshl_add_u32 v9, v9, 3, v5
	ds_read_b32 v10, v8
	ds_read_b32 v17, v9 offset:64
	s_or_b64 s[4:5], s[4:5], exec
	s_waitcnt lgkmcnt(0)
	v_cmp_nlt_f32_e32 vcc, v17, v10
	s_and_saveexec_b64 s[6:7], vcc
	s_cbranch_execz .LBB26_55
; %bb.57:                               ;   in Loop: Header=BB26_56 Depth=1
	v_cmp_eq_f32_e32 vcc, v17, v10
	s_mov_b64 s[8:9], 0
	s_and_saveexec_b64 s[10:11], vcc
	s_cbranch_execz .LBB26_54
; %bb.58:                               ;   in Loop: Header=BB26_56 Depth=1
	ds_read_b32 v9, v9 offset:68
	ds_read_b32 v8, v8 offset:4
	s_waitcnt lgkmcnt(0)
	v_cmp_lt_f32_e32 vcc, v9, v8
	s_and_b64 s[8:9], vcc, exec
	s_branch .LBB26_54
.LBB26_59:
	s_or_b64 exec, exec, s[2:3]
.LBB26_60:
	s_or_b64 exec, exec, s[0:1]
	v_lshl_add_u32 v10, v16, 3, v0
	v_add_u32_e32 v0, v15, v7
	v_sub_u32_e32 v0, v0, v16
	v_lshl_add_u32 v19, v0, 3, v2
	ds_read_b64 v[0:1], v19 offset:64
	ds_read_b64 v[5:6], v10
	v_add_u32_e32 v7, v14, v7
	v_add_u32_e32 v17, 16, v15
	v_sub_u32_e32 v18, v7, v16
	s_waitcnt lgkmcnt(1)
	v_mov_b32_e32 v7, v0
	v_mov_b32_e32 v8, v1
	v_cmp_gt_i32_e32 vcc, v17, v18
	s_mov_b64 s[2:3], 0
	s_and_saveexec_b64 s[4:5], vcc
	s_cbranch_execz .LBB26_66
; %bb.61:
	v_cmp_gt_i32_e32 vcc, 8, v16
	s_waitcnt lgkmcnt(0)
	v_cmp_nlt_f32_e64 s[0:1], v0, v5
	s_and_b64 s[6:7], vcc, s[0:1]
	s_mov_b64 s[2:3], -1
	s_and_saveexec_b64 s[0:1], s[6:7]
	s_cbranch_execz .LBB26_65
; %bb.62:
	v_cmp_eq_f32_e32 vcc, v0, v5
	s_mov_b64 s[2:3], 0
	s_and_saveexec_b64 s[6:7], vcc
; %bb.63:
	v_cmp_lt_f32_e32 vcc, v1, v6
	s_and_b64 s[2:3], vcc, exec
; %bb.64:
	s_or_b64 exec, exec, s[6:7]
	s_orn2_b64 s[2:3], s[2:3], exec
.LBB26_65:
	s_or_b64 exec, exec, s[0:1]
	s_and_b64 s[2:3], s[2:3], exec
.LBB26_66:
	s_or_b64 exec, exec, s[4:5]
	s_xor_b64 s[0:1], s[2:3], -1
                                        ; implicit-def: $vgpr9
	s_and_saveexec_b64 s[4:5], s[0:1]
	s_xor_b64 s[0:1], exec, s[4:5]
; %bb.67:
	ds_read_b64 v[9:10], v10 offset:8
                                        ; implicit-def: $vgpr19
; %bb.68:
	s_andn2_saveexec_b64 s[0:1], s[0:1]
	s_cbranch_execz .LBB26_70
; %bb.69:
	ds_read_b64 v[7:8], v19 offset:72
	s_waitcnt lgkmcnt(1)
	v_mov_b32_e32 v10, v6
	v_mov_b32_e32 v9, v5
.LBB26_70:
	s_or_b64 exec, exec, s[0:1]
	v_add_u32_e32 v19, 1, v18
	v_cndmask_b32_e64 v18, v18, v19, s[2:3]
	v_cmp_lt_i32_e32 vcc, v18, v17
	s_mov_b64 s[0:1], 0
	s_and_saveexec_b64 s[4:5], vcc
	s_cbranch_execz .LBB26_76
; %bb.71:
	v_add_u32_e32 v15, v16, v15
	v_add_u32_e32 v16, 1, v15
	v_cndmask_b32_e64 v15, v16, v15, s[2:3]
	v_cmp_lt_i32_e32 vcc, v15, v14
	s_waitcnt lgkmcnt(0)
	v_cmp_nlt_f32_e64 s[0:1], v7, v9
	s_and_b64 s[8:9], vcc, s[0:1]
	s_mov_b64 s[6:7], -1
	s_and_saveexec_b64 s[0:1], s[8:9]
	s_cbranch_execz .LBB26_75
; %bb.72:
	v_cmp_eq_f32_e32 vcc, v7, v9
	s_mov_b64 s[6:7], 0
	s_and_saveexec_b64 s[8:9], vcc
; %bb.73:
	v_cmp_lt_f32_e32 vcc, v8, v10
	s_and_b64 s[6:7], vcc, exec
; %bb.74:
	s_or_b64 exec, exec, s[8:9]
	s_orn2_b64 s[6:7], s[6:7], exec
.LBB26_75:
	s_or_b64 exec, exec, s[0:1]
	s_and_b64 s[0:1], s[6:7], exec
.LBB26_76:
	s_or_b64 exec, exec, s[4:5]
	v_and_b32_e32 v14, 32, v13
	s_waitcnt lgkmcnt(0)
	v_cndmask_b32_e64 v0, v5, v0, s[2:3]
	v_cndmask_b32_e64 v1, v6, v1, s[2:3]
	v_cndmask_b32_e64 v5, v9, v7, s[0:1]
	v_cndmask_b32_e64 v6, v10, v8, s[0:1]
	v_and_b32_e32 v7, 30, v13
	v_or_b32_e32 v13, 16, v14
	; wave barrier
	ds_write2_b64 v12, v[0:1], v[5:6] offset1:1
	v_sub_u32_e32 v1, v13, v14
	v_sub_u32_e64 v15, v7, 16 clamp
	v_min_i32_e32 v1, v7, v1
	v_lshl_add_u32 v0, v14, 3, v2
	v_cmp_lt_i32_e32 vcc, v15, v1
	; wave barrier
	s_and_saveexec_b64 s[0:1], vcc
	s_cbranch_execz .LBB26_84
; %bb.77:
	v_lshl_add_u32 v5, v7, 3, v0
	s_mov_b64 s[2:3], 0
                                        ; implicit-def: $sgpr4_sgpr5
	s_branch .LBB26_80
.LBB26_78:                              ;   in Loop: Header=BB26_80 Depth=1
	s_or_b64 exec, exec, s[10:11]
	s_andn2_b64 s[4:5], s[4:5], exec
	s_and_b64 s[8:9], s[8:9], exec
	s_or_b64 s[4:5], s[4:5], s[8:9]
.LBB26_79:                              ;   in Loop: Header=BB26_80 Depth=1
	s_or_b64 exec, exec, s[6:7]
	v_add_u32_e32 v8, 1, v6
	v_cndmask_b32_e64 v1, v1, v6, s[4:5]
	v_cndmask_b32_e64 v15, v8, v15, s[4:5]
	v_cmp_ge_i32_e32 vcc, v15, v1
	s_or_b64 s[2:3], vcc, s[2:3]
	s_andn2_b64 exec, exec, s[2:3]
	s_cbranch_execz .LBB26_83
.LBB26_80:                              ; =>This Inner Loop Header: Depth=1
	v_sub_u32_e32 v6, v1, v15
	v_lshrrev_b32_e32 v6, 1, v6
	v_add_u32_e32 v6, v6, v15
	v_lshl_add_u32 v8, v6, 3, v0
	v_not_b32_e32 v9, v6
	v_lshl_add_u32 v9, v9, 3, v5
	ds_read_b32 v10, v8
	ds_read_b32 v16, v9 offset:128
	s_or_b64 s[4:5], s[4:5], exec
	s_waitcnt lgkmcnt(0)
	v_cmp_nlt_f32_e32 vcc, v16, v10
	s_and_saveexec_b64 s[6:7], vcc
	s_cbranch_execz .LBB26_79
; %bb.81:                               ;   in Loop: Header=BB26_80 Depth=1
	v_cmp_eq_f32_e32 vcc, v16, v10
	s_mov_b64 s[8:9], 0
	s_and_saveexec_b64 s[10:11], vcc
	s_cbranch_execz .LBB26_78
; %bb.82:                               ;   in Loop: Header=BB26_80 Depth=1
	ds_read_b32 v9, v9 offset:132
	ds_read_b32 v8, v8 offset:4
	s_waitcnt lgkmcnt(0)
	v_cmp_lt_f32_e32 vcc, v9, v8
	s_and_b64 s[8:9], vcc, exec
	s_branch .LBB26_78
.LBB26_83:
	s_or_b64 exec, exec, s[2:3]
.LBB26_84:
	s_or_b64 exec, exec, s[0:1]
	v_lshl_add_u32 v10, v15, 3, v0
	v_add_u32_e32 v0, v14, v7
	v_sub_u32_e32 v0, v0, v15
	v_lshl_add_u32 v18, v0, 3, v2
	ds_read_b64 v[0:1], v18 offset:128
	ds_read_b64 v[5:6], v10
	v_add_u32_e32 v7, v13, v7
	v_add_u32_e32 v16, 32, v14
	v_sub_u32_e32 v17, v7, v15
	s_waitcnt lgkmcnt(1)
	v_mov_b32_e32 v7, v0
	v_mov_b32_e32 v8, v1
	v_cmp_gt_i32_e32 vcc, v16, v17
	s_mov_b64 s[2:3], 0
	s_and_saveexec_b64 s[4:5], vcc
	s_cbranch_execz .LBB26_90
; %bb.85:
	v_cmp_gt_i32_e32 vcc, 16, v15
	s_waitcnt lgkmcnt(0)
	v_cmp_nlt_f32_e64 s[0:1], v0, v5
	s_and_b64 s[6:7], vcc, s[0:1]
	s_mov_b64 s[2:3], -1
	s_and_saveexec_b64 s[0:1], s[6:7]
	s_cbranch_execz .LBB26_89
; %bb.86:
	v_cmp_eq_f32_e32 vcc, v0, v5
	s_mov_b64 s[2:3], 0
	s_and_saveexec_b64 s[6:7], vcc
; %bb.87:
	v_cmp_lt_f32_e32 vcc, v1, v6
	s_and_b64 s[2:3], vcc, exec
; %bb.88:
	s_or_b64 exec, exec, s[6:7]
	s_orn2_b64 s[2:3], s[2:3], exec
.LBB26_89:
	s_or_b64 exec, exec, s[0:1]
	s_and_b64 s[2:3], s[2:3], exec
.LBB26_90:
	s_or_b64 exec, exec, s[4:5]
	s_xor_b64 s[0:1], s[2:3], -1
                                        ; implicit-def: $vgpr9
	s_and_saveexec_b64 s[4:5], s[0:1]
	s_xor_b64 s[0:1], exec, s[4:5]
; %bb.91:
	ds_read_b64 v[9:10], v10 offset:8
                                        ; implicit-def: $vgpr18
; %bb.92:
	s_andn2_saveexec_b64 s[0:1], s[0:1]
	s_cbranch_execz .LBB26_94
; %bb.93:
	ds_read_b64 v[7:8], v18 offset:136
	s_waitcnt lgkmcnt(1)
	v_mov_b32_e32 v10, v6
	v_mov_b32_e32 v9, v5
.LBB26_94:
	s_or_b64 exec, exec, s[0:1]
	v_add_u32_e32 v18, 1, v17
	v_cndmask_b32_e64 v17, v17, v18, s[2:3]
	v_cmp_lt_i32_e32 vcc, v17, v16
	s_mov_b64 s[0:1], 0
	s_and_saveexec_b64 s[4:5], vcc
	s_cbranch_execz .LBB26_100
; %bb.95:
	v_add_u32_e32 v14, v15, v14
	v_add_u32_e32 v15, 1, v14
	v_cndmask_b32_e64 v14, v15, v14, s[2:3]
	v_cmp_lt_i32_e32 vcc, v14, v13
	s_waitcnt lgkmcnt(0)
	v_cmp_nlt_f32_e64 s[0:1], v7, v9
	s_and_b64 s[8:9], vcc, s[0:1]
	s_mov_b64 s[6:7], -1
	s_and_saveexec_b64 s[0:1], s[8:9]
	s_cbranch_execz .LBB26_99
; %bb.96:
	v_cmp_eq_f32_e32 vcc, v7, v9
	s_mov_b64 s[6:7], 0
	s_and_saveexec_b64 s[8:9], vcc
; %bb.97:
	v_cmp_lt_f32_e32 vcc, v8, v10
	s_and_b64 s[6:7], vcc, exec
; %bb.98:
	s_or_b64 exec, exec, s[8:9]
	s_orn2_b64 s[6:7], s[6:7], exec
.LBB26_99:
	s_or_b64 exec, exec, s[0:1]
	s_and_b64 s[0:1], s[6:7], exec
.LBB26_100:
	s_or_b64 exec, exec, s[4:5]
	s_waitcnt lgkmcnt(0)
	v_cndmask_b32_e64 v0, v5, v0, s[2:3]
	v_cndmask_b32_e64 v1, v6, v1, s[2:3]
	;; [unrolled: 1-line block ×4, first 2 shown]
	; wave barrier
	ds_write2_b64 v12, v[0:1], v[5:6] offset1:1
	v_sub_u32_e64 v13, v11, 32 clamp
	v_min_i32_e32 v0, 32, v11
	v_cmp_lt_u32_e32 vcc, v13, v0
	; wave barrier
	s_and_saveexec_b64 s[0:1], vcc
	s_cbranch_execz .LBB26_108
; %bb.101:
	s_mov_b64 s[2:3], 0
                                        ; implicit-def: $sgpr4_sgpr5
	s_branch .LBB26_104
.LBB26_102:                             ;   in Loop: Header=BB26_104 Depth=1
	s_or_b64 exec, exec, s[10:11]
	s_andn2_b64 s[4:5], s[4:5], exec
	s_and_b64 s[8:9], s[8:9], exec
	s_or_b64 s[4:5], s[4:5], s[8:9]
.LBB26_103:                             ;   in Loop: Header=BB26_104 Depth=1
	s_or_b64 exec, exec, s[6:7]
	v_add_u32_e32 v5, 1, v1
	v_cndmask_b32_e64 v0, v0, v1, s[4:5]
	v_cndmask_b32_e64 v13, v5, v13, s[4:5]
	v_cmp_ge_i32_e32 vcc, v13, v0
	s_or_b64 s[2:3], vcc, s[2:3]
	s_andn2_b64 exec, exec, s[2:3]
	s_cbranch_execz .LBB26_107
.LBB26_104:                             ; =>This Inner Loop Header: Depth=1
	v_sub_u32_e32 v1, v0, v13
	v_lshrrev_b32_e32 v1, 1, v1
	v_add_u32_e32 v1, v1, v13
	v_lshl_add_u32 v5, v1, 3, v2
	v_not_b32_e32 v6, v1
	v_lshl_add_u32 v6, v6, 3, v12
	ds_read_b32 v7, v5
	ds_read_b32 v8, v6 offset:256
	s_or_b64 s[4:5], s[4:5], exec
	s_waitcnt lgkmcnt(0)
	v_cmp_nlt_f32_e32 vcc, v8, v7
	s_and_saveexec_b64 s[6:7], vcc
	s_cbranch_execz .LBB26_103
; %bb.105:                              ;   in Loop: Header=BB26_104 Depth=1
	v_cmp_eq_f32_e32 vcc, v8, v7
	s_mov_b64 s[8:9], 0
	s_and_saveexec_b64 s[10:11], vcc
	s_cbranch_execz .LBB26_102
; %bb.106:                              ;   in Loop: Header=BB26_104 Depth=1
	ds_read_b32 v6, v6 offset:260
	ds_read_b32 v5, v5 offset:4
	s_waitcnt lgkmcnt(0)
	v_cmp_lt_f32_e32 vcc, v6, v5
	s_and_b64 s[8:9], vcc, exec
	s_branch .LBB26_102
.LBB26_107:
	s_or_b64 exec, exec, s[2:3]
.LBB26_108:
	s_or_b64 exec, exec, s[0:1]
	v_sub_u32_e32 v7, v11, v13
	v_lshl_add_u32 v11, v7, 3, v2
	ds_read_b64 v[0:1], v11 offset:256
	v_lshl_add_u32 v10, v13, 3, v2
	ds_read_b64 v[5:6], v10
	v_add_u32_e32 v2, 32, v7
	v_cmp_gt_i32_e32 vcc, 64, v2
	s_waitcnt lgkmcnt(1)
	v_mov_b32_e32 v7, v0
	v_mov_b32_e32 v8, v1
	s_mov_b64 s[2:3], 0
	s_and_saveexec_b64 s[4:5], vcc
	s_cbranch_execz .LBB26_114
; %bb.109:
	v_cmp_gt_i32_e32 vcc, 32, v13
	s_waitcnt lgkmcnt(0)
	v_cmp_nlt_f32_e64 s[0:1], v0, v5
	s_and_b64 s[6:7], vcc, s[0:1]
	s_mov_b64 s[2:3], -1
	s_and_saveexec_b64 s[0:1], s[6:7]
	s_cbranch_execz .LBB26_113
; %bb.110:
	v_cmp_eq_f32_e32 vcc, v0, v5
	s_mov_b64 s[2:3], 0
	s_and_saveexec_b64 s[6:7], vcc
; %bb.111:
	v_cmp_lt_f32_e32 vcc, v1, v6
	s_and_b64 s[2:3], vcc, exec
; %bb.112:
	s_or_b64 exec, exec, s[6:7]
	s_orn2_b64 s[2:3], s[2:3], exec
.LBB26_113:
	s_or_b64 exec, exec, s[0:1]
	s_and_b64 s[2:3], s[2:3], exec
.LBB26_114:
	s_or_b64 exec, exec, s[4:5]
	s_xor_b64 s[0:1], s[2:3], -1
                                        ; implicit-def: $vgpr9
	s_and_saveexec_b64 s[4:5], s[0:1]
	s_xor_b64 s[0:1], exec, s[4:5]
; %bb.115:
	ds_read_b64 v[9:10], v10 offset:8
                                        ; implicit-def: $vgpr11
; %bb.116:
	s_andn2_saveexec_b64 s[0:1], s[0:1]
	s_cbranch_execz .LBB26_118
; %bb.117:
	ds_read_b64 v[7:8], v11 offset:264
	s_waitcnt lgkmcnt(1)
	v_mov_b32_e32 v10, v6
	v_mov_b32_e32 v9, v5
.LBB26_118:
	s_or_b64 exec, exec, s[0:1]
	v_add_u32_e32 v11, 1, v2
	v_cndmask_b32_e64 v2, v2, v11, s[2:3]
	v_cmp_gt_i32_e32 vcc, 64, v2
	s_mov_b64 s[0:1], 0
	s_and_saveexec_b64 s[4:5], vcc
	s_cbranch_execz .LBB26_124
; %bb.119:
	v_add_u32_e32 v2, 1, v13
	v_cndmask_b32_e64 v2, v2, v13, s[2:3]
	v_cmp_gt_i32_e32 vcc, 32, v2
	s_waitcnt lgkmcnt(0)
	v_cmp_nlt_f32_e64 s[0:1], v7, v9
	s_and_b64 s[8:9], vcc, s[0:1]
	s_mov_b64 s[6:7], -1
	s_and_saveexec_b64 s[0:1], s[8:9]
	s_cbranch_execz .LBB26_123
; %bb.120:
	v_cmp_eq_f32_e32 vcc, v7, v9
	s_mov_b64 s[6:7], 0
	s_and_saveexec_b64 s[8:9], vcc
; %bb.121:
	v_cmp_lt_f32_e32 vcc, v8, v10
	s_and_b64 s[6:7], vcc, exec
; %bb.122:
	s_or_b64 exec, exec, s[8:9]
	s_orn2_b64 s[6:7], s[6:7], exec
.LBB26_123:
	s_or_b64 exec, exec, s[0:1]
	s_and_b64 s[0:1], s[6:7], exec
.LBB26_124:
	s_or_b64 exec, exec, s[4:5]
	s_waitcnt lgkmcnt(0)
	v_cndmask_b32_e64 v6, v6, v1, s[2:3]
	v_cndmask_b32_e64 v5, v5, v0, s[2:3]
	;; [unrolled: 1-line block ×4, first 2 shown]
	global_store_dwordx4 v[3:4], v[5:8], off
	s_endpgm
	.section	.rodata,"a",@progbits
	.p2align	6, 0x0
	.amdhsa_kernel _Z14sort_keys_fullILj256ELj32ELj2ELb0EN10test_utils16custom_test_typeIfEENS0_4lessEEvPT3_T4_
		.amdhsa_group_segment_fixed_size 4160
		.amdhsa_private_segment_fixed_size 0
		.amdhsa_kernarg_size 12
		.amdhsa_user_sgpr_count 6
		.amdhsa_user_sgpr_private_segment_buffer 1
		.amdhsa_user_sgpr_dispatch_ptr 0
		.amdhsa_user_sgpr_queue_ptr 0
		.amdhsa_user_sgpr_kernarg_segment_ptr 1
		.amdhsa_user_sgpr_dispatch_id 0
		.amdhsa_user_sgpr_flat_scratch_init 0
		.amdhsa_user_sgpr_private_segment_size 0
		.amdhsa_uses_dynamic_stack 0
		.amdhsa_system_sgpr_private_segment_wavefront_offset 0
		.amdhsa_system_sgpr_workgroup_id_x 1
		.amdhsa_system_sgpr_workgroup_id_y 0
		.amdhsa_system_sgpr_workgroup_id_z 0
		.amdhsa_system_sgpr_workgroup_info 0
		.amdhsa_system_vgpr_workitem_id 0
		.amdhsa_next_free_vgpr 20
		.amdhsa_next_free_sgpr 12
		.amdhsa_reserve_vcc 1
		.amdhsa_reserve_flat_scratch 0
		.amdhsa_float_round_mode_32 0
		.amdhsa_float_round_mode_16_64 0
		.amdhsa_float_denorm_mode_32 3
		.amdhsa_float_denorm_mode_16_64 3
		.amdhsa_dx10_clamp 1
		.amdhsa_ieee_mode 1
		.amdhsa_fp16_overflow 0
		.amdhsa_exception_fp_ieee_invalid_op 0
		.amdhsa_exception_fp_denorm_src 0
		.amdhsa_exception_fp_ieee_div_zero 0
		.amdhsa_exception_fp_ieee_overflow 0
		.amdhsa_exception_fp_ieee_underflow 0
		.amdhsa_exception_fp_ieee_inexact 0
		.amdhsa_exception_int_div_zero 0
	.end_amdhsa_kernel
	.section	.text._Z14sort_keys_fullILj256ELj32ELj2ELb0EN10test_utils16custom_test_typeIfEENS0_4lessEEvPT3_T4_,"axG",@progbits,_Z14sort_keys_fullILj256ELj32ELj2ELb0EN10test_utils16custom_test_typeIfEENS0_4lessEEvPT3_T4_,comdat
.Lfunc_end26:
	.size	_Z14sort_keys_fullILj256ELj32ELj2ELb0EN10test_utils16custom_test_typeIfEENS0_4lessEEvPT3_T4_, .Lfunc_end26-_Z14sort_keys_fullILj256ELj32ELj2ELb0EN10test_utils16custom_test_typeIfEENS0_4lessEEvPT3_T4_
                                        ; -- End function
	.set _Z14sort_keys_fullILj256ELj32ELj2ELb0EN10test_utils16custom_test_typeIfEENS0_4lessEEvPT3_T4_.num_vgpr, 20
	.set _Z14sort_keys_fullILj256ELj32ELj2ELb0EN10test_utils16custom_test_typeIfEENS0_4lessEEvPT3_T4_.num_agpr, 0
	.set _Z14sort_keys_fullILj256ELj32ELj2ELb0EN10test_utils16custom_test_typeIfEENS0_4lessEEvPT3_T4_.numbered_sgpr, 12
	.set _Z14sort_keys_fullILj256ELj32ELj2ELb0EN10test_utils16custom_test_typeIfEENS0_4lessEEvPT3_T4_.num_named_barrier, 0
	.set _Z14sort_keys_fullILj256ELj32ELj2ELb0EN10test_utils16custom_test_typeIfEENS0_4lessEEvPT3_T4_.private_seg_size, 0
	.set _Z14sort_keys_fullILj256ELj32ELj2ELb0EN10test_utils16custom_test_typeIfEENS0_4lessEEvPT3_T4_.uses_vcc, 1
	.set _Z14sort_keys_fullILj256ELj32ELj2ELb0EN10test_utils16custom_test_typeIfEENS0_4lessEEvPT3_T4_.uses_flat_scratch, 0
	.set _Z14sort_keys_fullILj256ELj32ELj2ELb0EN10test_utils16custom_test_typeIfEENS0_4lessEEvPT3_T4_.has_dyn_sized_stack, 0
	.set _Z14sort_keys_fullILj256ELj32ELj2ELb0EN10test_utils16custom_test_typeIfEENS0_4lessEEvPT3_T4_.has_recursion, 0
	.set _Z14sort_keys_fullILj256ELj32ELj2ELb0EN10test_utils16custom_test_typeIfEENS0_4lessEEvPT3_T4_.has_indirect_call, 0
	.section	.AMDGPU.csdata,"",@progbits
; Kernel info:
; codeLenInByte = 3204
; TotalNumSgprs: 16
; NumVgprs: 20
; ScratchSize: 0
; MemoryBound: 0
; FloatMode: 240
; IeeeMode: 1
; LDSByteSize: 4160 bytes/workgroup (compile time only)
; SGPRBlocks: 1
; VGPRBlocks: 4
; NumSGPRsForWavesPerEU: 16
; NumVGPRsForWavesPerEU: 20
; Occupancy: 10
; WaveLimiterHint : 0
; COMPUTE_PGM_RSRC2:SCRATCH_EN: 0
; COMPUTE_PGM_RSRC2:USER_SGPR: 6
; COMPUTE_PGM_RSRC2:TRAP_HANDLER: 0
; COMPUTE_PGM_RSRC2:TGID_X_EN: 1
; COMPUTE_PGM_RSRC2:TGID_Y_EN: 0
; COMPUTE_PGM_RSRC2:TGID_Z_EN: 0
; COMPUTE_PGM_RSRC2:TIDIG_COMP_CNT: 0
	.section	.text._Z14sort_keys_fullILj32ELj32ELj1ELb0E12hip_bfloat16N10test_utils4lessEEvPT3_T4_,"axG",@progbits,_Z14sort_keys_fullILj32ELj32ELj1ELb0E12hip_bfloat16N10test_utils4lessEEvPT3_T4_,comdat
	.protected	_Z14sort_keys_fullILj32ELj32ELj1ELb0E12hip_bfloat16N10test_utils4lessEEvPT3_T4_ ; -- Begin function _Z14sort_keys_fullILj32ELj32ELj1ELb0E12hip_bfloat16N10test_utils4lessEEvPT3_T4_
	.globl	_Z14sort_keys_fullILj32ELj32ELj1ELb0E12hip_bfloat16N10test_utils4lessEEvPT3_T4_
	.p2align	8
	.type	_Z14sort_keys_fullILj32ELj32ELj1ELb0E12hip_bfloat16N10test_utils4lessEEvPT3_T4_,@function
_Z14sort_keys_fullILj32ELj32ELj1ELb0E12hip_bfloat16N10test_utils4lessEEvPT3_T4_: ; @_Z14sort_keys_fullILj32ELj32ELj1ELb0E12hip_bfloat16N10test_utils4lessEEvPT3_T4_
; %bb.0:
	s_load_dwordx2 s[0:1], s[4:5], 0x0
	s_lshl_b32 s2, s6, 5
	s_mov_b32 s3, 0
	s_lshl_b64 s[2:3], s[2:3], 1
	v_lshlrev_b32_e32 v0, 1, v0
	s_waitcnt lgkmcnt(0)
	s_add_u32 s0, s0, s2
	s_addc_u32 s1, s1, s3
	global_load_ushort v9, v0, s[0:1]
	v_mbcnt_lo_u32_b32 v1, -1, 0
	v_mbcnt_hi_u32_b32 v4, -1, v1
	v_and_b32_e32 v7, 30, v4
	v_or_b32_e32 v6, 1, v7
	v_and_b32_e32 v8, 1, v4
	v_sub_u32_e32 v1, v6, v7
	v_and_b32_e32 v2, 31, v4
	v_min_i32_e32 v1, v8, v1
	v_lshlrev_b32_e32 v3, 1, v2
	v_cmp_lt_i32_e32 vcc, 0, v1
	v_mov_b32_e32 v1, s1
	v_add_co_u32_e64 v0, s[0:1], s0, v0
	v_mov_b32_e32 v5, 0
	; wave barrier
	v_addc_co_u32_e64 v1, s[0:1], 0, v1, s[0:1]
	s_waitcnt vmcnt(0)
	ds_write_b16 v3, v9
	v_lshlrev_b32_e32 v9, 1, v7
	; wave barrier
	s_and_saveexec_b64 s[0:1], vcc
	s_cbranch_execz .LBB27_4
; %bb.1:
	v_mov_b32_e32 v10, 1
	v_lshl_add_u32 v11, v8, 1, v9
	s_mov_b64 s[2:3], 0
.LBB27_2:                               ; =>This Inner Loop Header: Depth=1
	v_sub_u32_e32 v12, v10, v5
	v_lshrrev_b32_e32 v12, 1, v12
	v_add_u32_e32 v12, v12, v5
	v_not_b32_e32 v14, v12
	v_lshl_add_u32 v13, v12, 1, v9
	v_lshl_add_u32 v14, v14, 1, v11
	ds_read_u16 v13, v13
	ds_read_u16 v14, v14 offset:2
	v_add_u32_e32 v15, 1, v12
	s_waitcnt lgkmcnt(1)
	v_lshlrev_b32_e32 v13, 16, v13
	s_waitcnt lgkmcnt(0)
	v_lshlrev_b32_e32 v14, 16, v14
	v_cmp_lt_f32_e32 vcc, v14, v13
	v_cndmask_b32_e32 v10, v10, v12, vcc
	v_cndmask_b32_e32 v5, v15, v5, vcc
	v_cmp_ge_i32_e32 vcc, v5, v10
	s_or_b64 s[2:3], vcc, s[2:3]
	s_andn2_b64 exec, exec, s[2:3]
	s_cbranch_execnz .LBB27_2
; %bb.3:
	s_or_b64 exec, exec, s[2:3]
.LBB27_4:
	s_or_b64 exec, exec, s[0:1]
	v_add_u32_e32 v7, v7, v8
	v_sub_u32_e32 v7, v7, v5
	v_lshl_add_u32 v9, v5, 1, v9
	v_lshlrev_b32_e32 v7, 1, v7
	v_add_u32_e32 v10, v6, v8
	ds_read_u16 v8, v9
	ds_read_u16 v7, v7 offset:2
	v_sub_u32_e32 v9, v10, v5
	v_cmp_ge_i32_e32 vcc, v6, v9
	v_cmp_lt_i32_e64 s[0:1], 0, v5
	s_waitcnt lgkmcnt(1)
	v_lshlrev_b32_e32 v5, 16, v8
	s_waitcnt lgkmcnt(0)
	v_lshlrev_b32_e32 v6, 16, v7
	v_cmp_lt_f32_e64 s[2:3], v6, v5
	s_or_b64 s[0:1], s[0:1], s[2:3]
	s_and_b64 vcc, vcc, s[0:1]
	v_and_b32_e32 v6, 28, v4
	v_cndmask_b32_e32 v5, v8, v7, vcc
	v_or_b32_e32 v8, 2, v6
	v_and_b32_e32 v7, 3, v4
	v_sub_u32_e32 v9, v8, v6
	; wave barrier
	ds_write_b16 v3, v5
	v_sub_u32_e64 v5, v7, 2 clamp
	v_min_i32_e32 v10, v7, v9
	v_cmp_lt_i32_e32 vcc, v5, v10
	v_lshlrev_b32_e32 v9, 1, v6
	; wave barrier
	s_and_saveexec_b64 s[0:1], vcc
	s_cbranch_execz .LBB27_8
; %bb.5:
	v_lshl_add_u32 v11, v7, 1, v9
	s_mov_b64 s[2:3], 0
.LBB27_6:                               ; =>This Inner Loop Header: Depth=1
	v_sub_u32_e32 v12, v10, v5
	v_lshrrev_b32_e32 v12, 1, v12
	v_add_u32_e32 v12, v12, v5
	v_not_b32_e32 v14, v12
	v_lshl_add_u32 v13, v12, 1, v9
	v_lshl_add_u32 v14, v14, 1, v11
	ds_read_u16 v13, v13
	ds_read_u16 v14, v14 offset:4
	v_add_u32_e32 v15, 1, v12
	s_waitcnt lgkmcnt(1)
	v_lshlrev_b32_e32 v13, 16, v13
	s_waitcnt lgkmcnt(0)
	v_lshlrev_b32_e32 v14, 16, v14
	v_cmp_lt_f32_e32 vcc, v14, v13
	v_cndmask_b32_e32 v10, v10, v12, vcc
	v_cndmask_b32_e32 v5, v15, v5, vcc
	v_cmp_ge_i32_e32 vcc, v5, v10
	s_or_b64 s[2:3], vcc, s[2:3]
	s_andn2_b64 exec, exec, s[2:3]
	s_cbranch_execnz .LBB27_6
; %bb.7:
	s_or_b64 exec, exec, s[2:3]
.LBB27_8:
	s_or_b64 exec, exec, s[0:1]
	v_add_u32_e32 v10, 4, v6
	v_add_u32_e32 v6, v6, v7
	v_sub_u32_e32 v6, v6, v5
	v_lshl_add_u32 v9, v5, 1, v9
	v_lshlrev_b32_e32 v6, 1, v6
	v_add_u32_e32 v8, v8, v7
	ds_read_u16 v7, v9
	ds_read_u16 v6, v6 offset:4
	v_sub_u32_e32 v8, v8, v5
	v_cmp_gt_i32_e32 vcc, v10, v8
	v_cmp_lt_i32_e64 s[0:1], 1, v5
	s_waitcnt lgkmcnt(1)
	v_lshlrev_b32_e32 v5, 16, v7
	s_waitcnt lgkmcnt(0)
	v_lshlrev_b32_e32 v8, 16, v6
	v_cmp_lt_f32_e64 s[2:3], v8, v5
	s_or_b64 s[0:1], s[0:1], s[2:3]
	s_and_b64 vcc, vcc, s[0:1]
	v_cndmask_b32_e32 v5, v7, v6, vcc
	v_and_b32_e32 v6, 24, v4
	v_or_b32_e32 v8, 4, v6
	v_and_b32_e32 v7, 7, v4
	v_sub_u32_e32 v9, v8, v6
	; wave barrier
	ds_write_b16 v3, v5
	v_sub_u32_e64 v5, v7, 4 clamp
	v_min_i32_e32 v10, v7, v9
	v_cmp_lt_i32_e32 vcc, v5, v10
	v_lshlrev_b32_e32 v9, 1, v6
	; wave barrier
	s_and_saveexec_b64 s[0:1], vcc
	s_cbranch_execz .LBB27_12
; %bb.9:
	v_lshl_add_u32 v11, v7, 1, v9
	s_mov_b64 s[2:3], 0
.LBB27_10:                              ; =>This Inner Loop Header: Depth=1
	v_sub_u32_e32 v12, v10, v5
	v_lshrrev_b32_e32 v12, 1, v12
	v_add_u32_e32 v12, v12, v5
	v_not_b32_e32 v14, v12
	v_lshl_add_u32 v13, v12, 1, v9
	v_lshl_add_u32 v14, v14, 1, v11
	ds_read_u16 v13, v13
	ds_read_u16 v14, v14 offset:8
	v_add_u32_e32 v15, 1, v12
	s_waitcnt lgkmcnt(1)
	v_lshlrev_b32_e32 v13, 16, v13
	s_waitcnt lgkmcnt(0)
	v_lshlrev_b32_e32 v14, 16, v14
	v_cmp_lt_f32_e32 vcc, v14, v13
	v_cndmask_b32_e32 v10, v10, v12, vcc
	v_cndmask_b32_e32 v5, v15, v5, vcc
	v_cmp_ge_i32_e32 vcc, v5, v10
	s_or_b64 s[2:3], vcc, s[2:3]
	s_andn2_b64 exec, exec, s[2:3]
	s_cbranch_execnz .LBB27_10
; %bb.11:
	s_or_b64 exec, exec, s[2:3]
.LBB27_12:
	s_or_b64 exec, exec, s[0:1]
	v_add_u32_e32 v10, 8, v6
	v_add_u32_e32 v6, v6, v7
	v_sub_u32_e32 v6, v6, v5
	v_lshl_add_u32 v9, v5, 1, v9
	v_lshlrev_b32_e32 v6, 1, v6
	v_add_u32_e32 v8, v8, v7
	ds_read_u16 v7, v9
	ds_read_u16 v6, v6 offset:8
	v_sub_u32_e32 v8, v8, v5
	v_cmp_gt_i32_e32 vcc, v10, v8
	v_cmp_lt_i32_e64 s[0:1], 3, v5
	s_waitcnt lgkmcnt(1)
	v_lshlrev_b32_e32 v5, 16, v7
	s_waitcnt lgkmcnt(0)
	v_lshlrev_b32_e32 v8, 16, v6
	v_cmp_lt_f32_e64 s[2:3], v8, v5
	s_or_b64 s[0:1], s[0:1], s[2:3]
	s_and_b64 vcc, vcc, s[0:1]
	v_cndmask_b32_e32 v5, v7, v6, vcc
	; wave barrier
	ds_write_b16 v3, v5
	v_and_b32_e32 v5, 16, v4
	v_or_b32_e32 v7, 8, v5
	v_and_b32_e32 v6, 15, v4
	v_sub_u32_e32 v8, v7, v5
	v_sub_u32_e64 v4, v6, 8 clamp
	v_min_i32_e32 v9, v6, v8
	v_cmp_lt_i32_e32 vcc, v4, v9
	v_lshlrev_b32_e32 v8, 1, v5
	; wave barrier
	s_and_saveexec_b64 s[0:1], vcc
	s_cbranch_execz .LBB27_16
; %bb.13:
	v_lshl_add_u32 v10, v6, 1, v8
	s_mov_b64 s[2:3], 0
.LBB27_14:                              ; =>This Inner Loop Header: Depth=1
	v_sub_u32_e32 v11, v9, v4
	v_lshrrev_b32_e32 v11, 1, v11
	v_add_u32_e32 v11, v11, v4
	v_not_b32_e32 v13, v11
	v_lshl_add_u32 v12, v11, 1, v8
	v_lshl_add_u32 v13, v13, 1, v10
	ds_read_u16 v12, v12
	ds_read_u16 v13, v13 offset:16
	v_add_u32_e32 v14, 1, v11
	s_waitcnt lgkmcnt(1)
	v_lshlrev_b32_e32 v12, 16, v12
	s_waitcnt lgkmcnt(0)
	v_lshlrev_b32_e32 v13, 16, v13
	v_cmp_lt_f32_e32 vcc, v13, v12
	v_cndmask_b32_e32 v9, v9, v11, vcc
	v_cndmask_b32_e32 v4, v14, v4, vcc
	v_cmp_ge_i32_e32 vcc, v4, v9
	s_or_b64 s[2:3], vcc, s[2:3]
	s_andn2_b64 exec, exec, s[2:3]
	s_cbranch_execnz .LBB27_14
; %bb.15:
	s_or_b64 exec, exec, s[2:3]
.LBB27_16:
	s_or_b64 exec, exec, s[0:1]
	v_add_u32_e32 v9, 16, v5
	v_add_u32_e32 v5, v5, v6
	v_sub_u32_e32 v5, v5, v4
	v_lshl_add_u32 v8, v4, 1, v8
	v_lshlrev_b32_e32 v5, 1, v5
	v_add_u32_e32 v7, v7, v6
	ds_read_u16 v6, v8
	ds_read_u16 v5, v5 offset:16
	v_sub_u32_e32 v7, v7, v4
	v_cmp_gt_i32_e32 vcc, v9, v7
	v_cmp_lt_i32_e64 s[0:1], 7, v4
	s_waitcnt lgkmcnt(1)
	v_lshlrev_b32_e32 v4, 16, v6
	s_waitcnt lgkmcnt(0)
	v_lshlrev_b32_e32 v7, 16, v5
	v_cmp_lt_f32_e64 s[2:3], v7, v4
	s_or_b64 s[0:1], s[0:1], s[2:3]
	s_and_b64 vcc, vcc, s[0:1]
	v_cndmask_b32_e32 v4, v6, v5, vcc
	; wave barrier
	ds_write_b16 v3, v4
	v_sub_u32_e64 v4, v2, 16 clamp
	v_min_u32_e32 v5, 16, v2
	v_cmp_lt_u32_e32 vcc, v4, v5
	; wave barrier
	s_and_saveexec_b64 s[0:1], vcc
	s_cbranch_execz .LBB27_20
; %bb.17:
	s_mov_b64 s[2:3], 0
.LBB27_18:                              ; =>This Inner Loop Header: Depth=1
	v_sub_u32_e32 v6, v5, v4
	v_lshrrev_b32_e32 v6, 1, v6
	v_add_u32_e32 v6, v6, v4
	v_not_b32_e32 v8, v6
	v_lshlrev_b32_e32 v7, 1, v6
	v_lshl_add_u32 v8, v8, 1, v3
	ds_read_u16 v7, v7
	ds_read_u16 v8, v8 offset:32
	v_add_u32_e32 v9, 1, v6
	s_waitcnt lgkmcnt(1)
	v_lshlrev_b32_e32 v7, 16, v7
	s_waitcnt lgkmcnt(0)
	v_lshlrev_b32_e32 v8, 16, v8
	v_cmp_lt_f32_e32 vcc, v8, v7
	v_cndmask_b32_e32 v5, v5, v6, vcc
	v_cndmask_b32_e32 v4, v9, v4, vcc
	v_cmp_ge_i32_e32 vcc, v4, v5
	s_or_b64 s[2:3], vcc, s[2:3]
	s_andn2_b64 exec, exec, s[2:3]
	s_cbranch_execnz .LBB27_18
; %bb.19:
	s_or_b64 exec, exec, s[2:3]
.LBB27_20:
	s_or_b64 exec, exec, s[0:1]
	v_sub_u32_e32 v2, v2, v4
	v_lshlrev_b32_e32 v3, 1, v4
	v_lshlrev_b32_e32 v5, 1, v2
	ds_read_u16 v3, v3
	ds_read_u16 v5, v5 offset:32
	v_add_u32_e32 v2, 16, v2
	v_cmp_gt_i32_e32 vcc, 32, v2
	v_cmp_lt_i32_e64 s[0:1], 15, v4
	s_waitcnt lgkmcnt(1)
	v_lshlrev_b32_e32 v2, 16, v3
	s_waitcnt lgkmcnt(0)
	v_lshlrev_b32_e32 v4, 16, v5
	v_cmp_lt_f32_e64 s[2:3], v4, v2
	s_or_b64 s[0:1], s[0:1], s[2:3]
	s_and_b64 vcc, vcc, s[0:1]
	v_cndmask_b32_e32 v2, v3, v5, vcc
	global_store_short v[0:1], v2, off
	s_endpgm
	.section	.rodata,"a",@progbits
	.p2align	6, 0x0
	.amdhsa_kernel _Z14sort_keys_fullILj32ELj32ELj1ELb0E12hip_bfloat16N10test_utils4lessEEvPT3_T4_
		.amdhsa_group_segment_fixed_size 66
		.amdhsa_private_segment_fixed_size 0
		.amdhsa_kernarg_size 12
		.amdhsa_user_sgpr_count 6
		.amdhsa_user_sgpr_private_segment_buffer 1
		.amdhsa_user_sgpr_dispatch_ptr 0
		.amdhsa_user_sgpr_queue_ptr 0
		.amdhsa_user_sgpr_kernarg_segment_ptr 1
		.amdhsa_user_sgpr_dispatch_id 0
		.amdhsa_user_sgpr_flat_scratch_init 0
		.amdhsa_user_sgpr_private_segment_size 0
		.amdhsa_uses_dynamic_stack 0
		.amdhsa_system_sgpr_private_segment_wavefront_offset 0
		.amdhsa_system_sgpr_workgroup_id_x 1
		.amdhsa_system_sgpr_workgroup_id_y 0
		.amdhsa_system_sgpr_workgroup_id_z 0
		.amdhsa_system_sgpr_workgroup_info 0
		.amdhsa_system_vgpr_workitem_id 0
		.amdhsa_next_free_vgpr 16
		.amdhsa_next_free_sgpr 7
		.amdhsa_reserve_vcc 1
		.amdhsa_reserve_flat_scratch 0
		.amdhsa_float_round_mode_32 0
		.amdhsa_float_round_mode_16_64 0
		.amdhsa_float_denorm_mode_32 3
		.amdhsa_float_denorm_mode_16_64 3
		.amdhsa_dx10_clamp 1
		.amdhsa_ieee_mode 1
		.amdhsa_fp16_overflow 0
		.amdhsa_exception_fp_ieee_invalid_op 0
		.amdhsa_exception_fp_denorm_src 0
		.amdhsa_exception_fp_ieee_div_zero 0
		.amdhsa_exception_fp_ieee_overflow 0
		.amdhsa_exception_fp_ieee_underflow 0
		.amdhsa_exception_fp_ieee_inexact 0
		.amdhsa_exception_int_div_zero 0
	.end_amdhsa_kernel
	.section	.text._Z14sort_keys_fullILj32ELj32ELj1ELb0E12hip_bfloat16N10test_utils4lessEEvPT3_T4_,"axG",@progbits,_Z14sort_keys_fullILj32ELj32ELj1ELb0E12hip_bfloat16N10test_utils4lessEEvPT3_T4_,comdat
.Lfunc_end27:
	.size	_Z14sort_keys_fullILj32ELj32ELj1ELb0E12hip_bfloat16N10test_utils4lessEEvPT3_T4_, .Lfunc_end27-_Z14sort_keys_fullILj32ELj32ELj1ELb0E12hip_bfloat16N10test_utils4lessEEvPT3_T4_
                                        ; -- End function
	.set _Z14sort_keys_fullILj32ELj32ELj1ELb0E12hip_bfloat16N10test_utils4lessEEvPT3_T4_.num_vgpr, 16
	.set _Z14sort_keys_fullILj32ELj32ELj1ELb0E12hip_bfloat16N10test_utils4lessEEvPT3_T4_.num_agpr, 0
	.set _Z14sort_keys_fullILj32ELj32ELj1ELb0E12hip_bfloat16N10test_utils4lessEEvPT3_T4_.numbered_sgpr, 7
	.set _Z14sort_keys_fullILj32ELj32ELj1ELb0E12hip_bfloat16N10test_utils4lessEEvPT3_T4_.num_named_barrier, 0
	.set _Z14sort_keys_fullILj32ELj32ELj1ELb0E12hip_bfloat16N10test_utils4lessEEvPT3_T4_.private_seg_size, 0
	.set _Z14sort_keys_fullILj32ELj32ELj1ELb0E12hip_bfloat16N10test_utils4lessEEvPT3_T4_.uses_vcc, 1
	.set _Z14sort_keys_fullILj32ELj32ELj1ELb0E12hip_bfloat16N10test_utils4lessEEvPT3_T4_.uses_flat_scratch, 0
	.set _Z14sort_keys_fullILj32ELj32ELj1ELb0E12hip_bfloat16N10test_utils4lessEEvPT3_T4_.has_dyn_sized_stack, 0
	.set _Z14sort_keys_fullILj32ELj32ELj1ELb0E12hip_bfloat16N10test_utils4lessEEvPT3_T4_.has_recursion, 0
	.set _Z14sort_keys_fullILj32ELj32ELj1ELb0E12hip_bfloat16N10test_utils4lessEEvPT3_T4_.has_indirect_call, 0
	.section	.AMDGPU.csdata,"",@progbits
; Kernel info:
; codeLenInByte = 1372
; TotalNumSgprs: 11
; NumVgprs: 16
; ScratchSize: 0
; MemoryBound: 0
; FloatMode: 240
; IeeeMode: 1
; LDSByteSize: 66 bytes/workgroup (compile time only)
; SGPRBlocks: 1
; VGPRBlocks: 3
; NumSGPRsForWavesPerEU: 11
; NumVGPRsForWavesPerEU: 16
; Occupancy: 10
; WaveLimiterHint : 0
; COMPUTE_PGM_RSRC2:SCRATCH_EN: 0
; COMPUTE_PGM_RSRC2:USER_SGPR: 6
; COMPUTE_PGM_RSRC2:TRAP_HANDLER: 0
; COMPUTE_PGM_RSRC2:TGID_X_EN: 1
; COMPUTE_PGM_RSRC2:TGID_Y_EN: 0
; COMPUTE_PGM_RSRC2:TGID_Z_EN: 0
; COMPUTE_PGM_RSRC2:TIDIG_COMP_CNT: 0
	.section	.text._Z14sort_keys_fullILj32ELj32ELj1ELb0E6__halfN10test_utils4lessEEvPT3_T4_,"axG",@progbits,_Z14sort_keys_fullILj32ELj32ELj1ELb0E6__halfN10test_utils4lessEEvPT3_T4_,comdat
	.protected	_Z14sort_keys_fullILj32ELj32ELj1ELb0E6__halfN10test_utils4lessEEvPT3_T4_ ; -- Begin function _Z14sort_keys_fullILj32ELj32ELj1ELb0E6__halfN10test_utils4lessEEvPT3_T4_
	.globl	_Z14sort_keys_fullILj32ELj32ELj1ELb0E6__halfN10test_utils4lessEEvPT3_T4_
	.p2align	8
	.type	_Z14sort_keys_fullILj32ELj32ELj1ELb0E6__halfN10test_utils4lessEEvPT3_T4_,@function
_Z14sort_keys_fullILj32ELj32ELj1ELb0E6__halfN10test_utils4lessEEvPT3_T4_: ; @_Z14sort_keys_fullILj32ELj32ELj1ELb0E6__halfN10test_utils4lessEEvPT3_T4_
; %bb.0:
	s_load_dwordx2 s[0:1], s[4:5], 0x0
	s_lshl_b32 s2, s6, 5
	s_mov_b32 s3, 0
	s_lshl_b64 s[2:3], s[2:3], 1
	v_lshlrev_b32_e32 v0, 1, v0
	s_waitcnt lgkmcnt(0)
	s_add_u32 s0, s0, s2
	s_addc_u32 s1, s1, s3
	global_load_ushort v9, v0, s[0:1]
	v_mbcnt_lo_u32_b32 v1, -1, 0
	v_mbcnt_hi_u32_b32 v4, -1, v1
	v_and_b32_e32 v8, 30, v4
	v_or_b32_e32 v7, 1, v8
	v_and_b32_e32 v6, 1, v4
	v_sub_u32_e32 v1, v7, v8
	v_and_b32_e32 v2, 31, v4
	v_min_i32_e32 v1, v6, v1
	v_lshlrev_b32_e32 v3, 1, v2
	v_cmp_lt_i32_e32 vcc, 0, v1
	v_mov_b32_e32 v1, s1
	v_add_co_u32_e64 v0, s[0:1], s0, v0
	v_mov_b32_e32 v5, 0
	; wave barrier
	v_addc_co_u32_e64 v1, s[0:1], 0, v1, s[0:1]
	s_waitcnt vmcnt(0)
	ds_write_b16 v3, v9
	v_lshlrev_b32_e32 v9, 1, v8
	; wave barrier
	s_and_saveexec_b64 s[0:1], vcc
	s_cbranch_execz .LBB28_4
; %bb.1:
	v_mov_b32_e32 v10, 1
	v_lshl_add_u32 v11, v6, 1, v9
	s_mov_b64 s[2:3], 0
.LBB28_2:                               ; =>This Inner Loop Header: Depth=1
	v_sub_u32_e32 v12, v10, v5
	v_lshrrev_b32_e32 v12, 1, v12
	v_add_u32_e32 v12, v12, v5
	v_not_b32_e32 v14, v12
	v_lshl_add_u32 v13, v12, 1, v9
	v_lshl_add_u32 v14, v14, 1, v11
	ds_read_u16 v13, v13
	ds_read_u16 v14, v14 offset:2
	v_add_u32_e32 v15, 1, v12
	s_waitcnt lgkmcnt(0)
	v_cmp_lt_f16_e32 vcc, v14, v13
	v_cndmask_b32_e32 v10, v10, v12, vcc
	v_cndmask_b32_e32 v5, v15, v5, vcc
	v_cmp_ge_i32_e32 vcc, v5, v10
	s_or_b64 s[2:3], vcc, s[2:3]
	s_andn2_b64 exec, exec, s[2:3]
	s_cbranch_execnz .LBB28_2
; %bb.3:
	s_or_b64 exec, exec, s[2:3]
.LBB28_4:
	s_or_b64 exec, exec, s[0:1]
	v_add_u32_e32 v8, v8, v6
	v_sub_u32_e32 v8, v8, v5
	v_lshl_add_u32 v9, v5, 1, v9
	v_lshlrev_b32_e32 v8, 1, v8
	ds_read_u16 v9, v9
	ds_read_u16 v8, v8 offset:2
	v_add_u32_e32 v6, v7, v6
	v_sub_u32_e32 v6, v6, v5
	v_cmp_lt_i32_e64 s[0:1], 0, v5
	v_cmp_ge_i32_e32 vcc, v7, v6
	s_waitcnt lgkmcnt(0)
	v_cmp_lt_f16_e64 s[2:3], v8, v9
	s_or_b64 s[0:1], s[0:1], s[2:3]
	s_and_b64 vcc, vcc, s[0:1]
	v_cndmask_b32_e32 v5, v9, v8, vcc
	v_and_b32_e32 v8, 28, v4
	v_or_b32_e32 v7, 2, v8
	; wave barrier
	ds_write_b16 v3, v5
	v_and_b32_e32 v5, 3, v4
	v_sub_u32_e32 v9, v7, v8
	v_sub_u32_e64 v6, v5, 2 clamp
	v_min_i32_e32 v10, v5, v9
	v_cmp_lt_i32_e32 vcc, v6, v10
	v_lshlrev_b32_e32 v9, 1, v8
	; wave barrier
	s_and_saveexec_b64 s[0:1], vcc
	s_cbranch_execz .LBB28_8
; %bb.5:
	v_lshl_add_u32 v11, v5, 1, v9
	s_mov_b64 s[2:3], 0
.LBB28_6:                               ; =>This Inner Loop Header: Depth=1
	v_sub_u32_e32 v12, v10, v6
	v_lshrrev_b32_e32 v12, 1, v12
	v_add_u32_e32 v12, v12, v6
	v_not_b32_e32 v14, v12
	v_lshl_add_u32 v13, v12, 1, v9
	v_lshl_add_u32 v14, v14, 1, v11
	ds_read_u16 v13, v13
	ds_read_u16 v14, v14 offset:4
	v_add_u32_e32 v15, 1, v12
	s_waitcnt lgkmcnt(0)
	v_cmp_lt_f16_e32 vcc, v14, v13
	v_cndmask_b32_e32 v10, v10, v12, vcc
	v_cndmask_b32_e32 v6, v15, v6, vcc
	v_cmp_ge_i32_e32 vcc, v6, v10
	s_or_b64 s[2:3], vcc, s[2:3]
	s_andn2_b64 exec, exec, s[2:3]
	s_cbranch_execnz .LBB28_6
; %bb.7:
	s_or_b64 exec, exec, s[2:3]
.LBB28_8:
	s_or_b64 exec, exec, s[0:1]
	v_add_u32_e32 v10, 4, v8
	v_add_u32_e32 v8, v8, v5
	v_sub_u32_e32 v8, v8, v6
	v_lshl_add_u32 v9, v6, 1, v9
	v_lshlrev_b32_e32 v8, 1, v8
	ds_read_u16 v9, v9
	ds_read_u16 v8, v8 offset:4
	v_add_u32_e32 v5, v7, v5
	v_sub_u32_e32 v5, v5, v6
	v_cmp_lt_i32_e64 s[0:1], 1, v6
	v_cmp_gt_i32_e32 vcc, v10, v5
	s_waitcnt lgkmcnt(0)
	v_cmp_lt_f16_e64 s[2:3], v8, v9
	s_or_b64 s[0:1], s[0:1], s[2:3]
	s_and_b64 vcc, vcc, s[0:1]
	v_cndmask_b32_e32 v5, v9, v8, vcc
	v_and_b32_e32 v8, 24, v4
	v_or_b32_e32 v7, 4, v8
	; wave barrier
	ds_write_b16 v3, v5
	v_and_b32_e32 v5, 7, v4
	v_sub_u32_e32 v9, v7, v8
	v_sub_u32_e64 v6, v5, 4 clamp
	v_min_i32_e32 v10, v5, v9
	v_cmp_lt_i32_e32 vcc, v6, v10
	v_lshlrev_b32_e32 v9, 1, v8
	; wave barrier
	s_and_saveexec_b64 s[0:1], vcc
	s_cbranch_execz .LBB28_12
; %bb.9:
	v_lshl_add_u32 v11, v5, 1, v9
	s_mov_b64 s[2:3], 0
.LBB28_10:                              ; =>This Inner Loop Header: Depth=1
	v_sub_u32_e32 v12, v10, v6
	v_lshrrev_b32_e32 v12, 1, v12
	v_add_u32_e32 v12, v12, v6
	v_not_b32_e32 v14, v12
	v_lshl_add_u32 v13, v12, 1, v9
	v_lshl_add_u32 v14, v14, 1, v11
	ds_read_u16 v13, v13
	ds_read_u16 v14, v14 offset:8
	v_add_u32_e32 v15, 1, v12
	s_waitcnt lgkmcnt(0)
	v_cmp_lt_f16_e32 vcc, v14, v13
	v_cndmask_b32_e32 v10, v10, v12, vcc
	v_cndmask_b32_e32 v6, v15, v6, vcc
	v_cmp_ge_i32_e32 vcc, v6, v10
	s_or_b64 s[2:3], vcc, s[2:3]
	s_andn2_b64 exec, exec, s[2:3]
	s_cbranch_execnz .LBB28_10
; %bb.11:
	s_or_b64 exec, exec, s[2:3]
.LBB28_12:
	s_or_b64 exec, exec, s[0:1]
	v_add_u32_e32 v10, 8, v8
	v_add_u32_e32 v8, v8, v5
	v_sub_u32_e32 v8, v8, v6
	v_lshl_add_u32 v9, v6, 1, v9
	v_lshlrev_b32_e32 v8, 1, v8
	ds_read_u16 v9, v9
	ds_read_u16 v8, v8 offset:8
	v_add_u32_e32 v5, v7, v5
	v_sub_u32_e32 v5, v5, v6
	v_cmp_lt_i32_e64 s[0:1], 3, v6
	v_cmp_gt_i32_e32 vcc, v10, v5
	s_waitcnt lgkmcnt(0)
	v_cmp_lt_f16_e64 s[2:3], v8, v9
	s_or_b64 s[0:1], s[0:1], s[2:3]
	v_and_b32_e32 v7, 16, v4
	s_and_b64 vcc, vcc, s[0:1]
	v_or_b32_e32 v6, 8, v7
	v_cndmask_b32_e32 v5, v9, v8, vcc
	v_and_b32_e32 v4, 15, v4
	v_sub_u32_e32 v8, v6, v7
	; wave barrier
	ds_write_b16 v3, v5
	v_sub_u32_e64 v5, v4, 8 clamp
	v_min_i32_e32 v9, v4, v8
	v_cmp_lt_i32_e32 vcc, v5, v9
	v_lshlrev_b32_e32 v8, 1, v7
	; wave barrier
	s_and_saveexec_b64 s[0:1], vcc
	s_cbranch_execz .LBB28_16
; %bb.13:
	v_lshl_add_u32 v10, v4, 1, v8
	s_mov_b64 s[2:3], 0
.LBB28_14:                              ; =>This Inner Loop Header: Depth=1
	v_sub_u32_e32 v11, v9, v5
	v_lshrrev_b32_e32 v11, 1, v11
	v_add_u32_e32 v11, v11, v5
	v_not_b32_e32 v13, v11
	v_lshl_add_u32 v12, v11, 1, v8
	v_lshl_add_u32 v13, v13, 1, v10
	ds_read_u16 v12, v12
	ds_read_u16 v13, v13 offset:16
	v_add_u32_e32 v14, 1, v11
	s_waitcnt lgkmcnt(0)
	v_cmp_lt_f16_e32 vcc, v13, v12
	v_cndmask_b32_e32 v9, v9, v11, vcc
	v_cndmask_b32_e32 v5, v14, v5, vcc
	v_cmp_ge_i32_e32 vcc, v5, v9
	s_or_b64 s[2:3], vcc, s[2:3]
	s_andn2_b64 exec, exec, s[2:3]
	s_cbranch_execnz .LBB28_14
; %bb.15:
	s_or_b64 exec, exec, s[2:3]
.LBB28_16:
	s_or_b64 exec, exec, s[0:1]
	v_add_u32_e32 v9, 16, v7
	v_add_u32_e32 v7, v7, v4
	v_sub_u32_e32 v7, v7, v5
	v_lshl_add_u32 v8, v5, 1, v8
	v_lshlrev_b32_e32 v7, 1, v7
	ds_read_u16 v8, v8
	ds_read_u16 v7, v7 offset:16
	v_add_u32_e32 v4, v6, v4
	v_sub_u32_e32 v4, v4, v5
	v_cmp_lt_i32_e64 s[0:1], 7, v5
	v_cmp_gt_i32_e32 vcc, v9, v4
	s_waitcnt lgkmcnt(0)
	v_cmp_lt_f16_e64 s[2:3], v7, v8
	s_or_b64 s[0:1], s[0:1], s[2:3]
	s_and_b64 vcc, vcc, s[0:1]
	v_cndmask_b32_e32 v4, v8, v7, vcc
	; wave barrier
	ds_write_b16 v3, v4
	v_sub_u32_e64 v4, v2, 16 clamp
	v_min_u32_e32 v5, 16, v2
	v_cmp_lt_u32_e32 vcc, v4, v5
	; wave barrier
	s_and_saveexec_b64 s[0:1], vcc
	s_cbranch_execz .LBB28_20
; %bb.17:
	s_mov_b64 s[2:3], 0
.LBB28_18:                              ; =>This Inner Loop Header: Depth=1
	v_sub_u32_e32 v6, v5, v4
	v_lshrrev_b32_e32 v6, 1, v6
	v_add_u32_e32 v6, v6, v4
	v_not_b32_e32 v8, v6
	v_lshlrev_b32_e32 v7, 1, v6
	v_lshl_add_u32 v8, v8, 1, v3
	ds_read_u16 v7, v7
	ds_read_u16 v8, v8 offset:32
	v_add_u32_e32 v9, 1, v6
	s_waitcnt lgkmcnt(0)
	v_cmp_lt_f16_e32 vcc, v8, v7
	v_cndmask_b32_e32 v5, v5, v6, vcc
	v_cndmask_b32_e32 v4, v9, v4, vcc
	v_cmp_ge_i32_e32 vcc, v4, v5
	s_or_b64 s[2:3], vcc, s[2:3]
	s_andn2_b64 exec, exec, s[2:3]
	s_cbranch_execnz .LBB28_18
; %bb.19:
	s_or_b64 exec, exec, s[2:3]
.LBB28_20:
	s_or_b64 exec, exec, s[0:1]
	v_sub_u32_e32 v2, v2, v4
	v_lshlrev_b32_e32 v3, 1, v4
	v_lshlrev_b32_e32 v5, 1, v2
	ds_read_u16 v3, v3
	ds_read_u16 v5, v5 offset:32
	v_add_u32_e32 v2, 16, v2
	v_cmp_lt_i32_e64 s[0:1], 15, v4
	v_cmp_gt_i32_e32 vcc, 32, v2
	s_waitcnt lgkmcnt(0)
	v_cmp_lt_f16_e64 s[2:3], v5, v3
	s_or_b64 s[0:1], s[0:1], s[2:3]
	s_and_b64 vcc, vcc, s[0:1]
	v_cndmask_b32_e32 v2, v3, v5, vcc
	global_store_short v[0:1], v2, off
	s_endpgm
	.section	.rodata,"a",@progbits
	.p2align	6, 0x0
	.amdhsa_kernel _Z14sort_keys_fullILj32ELj32ELj1ELb0E6__halfN10test_utils4lessEEvPT3_T4_
		.amdhsa_group_segment_fixed_size 66
		.amdhsa_private_segment_fixed_size 0
		.amdhsa_kernarg_size 12
		.amdhsa_user_sgpr_count 6
		.amdhsa_user_sgpr_private_segment_buffer 1
		.amdhsa_user_sgpr_dispatch_ptr 0
		.amdhsa_user_sgpr_queue_ptr 0
		.amdhsa_user_sgpr_kernarg_segment_ptr 1
		.amdhsa_user_sgpr_dispatch_id 0
		.amdhsa_user_sgpr_flat_scratch_init 0
		.amdhsa_user_sgpr_private_segment_size 0
		.amdhsa_uses_dynamic_stack 0
		.amdhsa_system_sgpr_private_segment_wavefront_offset 0
		.amdhsa_system_sgpr_workgroup_id_x 1
		.amdhsa_system_sgpr_workgroup_id_y 0
		.amdhsa_system_sgpr_workgroup_id_z 0
		.amdhsa_system_sgpr_workgroup_info 0
		.amdhsa_system_vgpr_workitem_id 0
		.amdhsa_next_free_vgpr 16
		.amdhsa_next_free_sgpr 7
		.amdhsa_reserve_vcc 1
		.amdhsa_reserve_flat_scratch 0
		.amdhsa_float_round_mode_32 0
		.amdhsa_float_round_mode_16_64 0
		.amdhsa_float_denorm_mode_32 3
		.amdhsa_float_denorm_mode_16_64 3
		.amdhsa_dx10_clamp 1
		.amdhsa_ieee_mode 1
		.amdhsa_fp16_overflow 0
		.amdhsa_exception_fp_ieee_invalid_op 0
		.amdhsa_exception_fp_denorm_src 0
		.amdhsa_exception_fp_ieee_div_zero 0
		.amdhsa_exception_fp_ieee_overflow 0
		.amdhsa_exception_fp_ieee_underflow 0
		.amdhsa_exception_fp_ieee_inexact 0
		.amdhsa_exception_int_div_zero 0
	.end_amdhsa_kernel
	.section	.text._Z14sort_keys_fullILj32ELj32ELj1ELb0E6__halfN10test_utils4lessEEvPT3_T4_,"axG",@progbits,_Z14sort_keys_fullILj32ELj32ELj1ELb0E6__halfN10test_utils4lessEEvPT3_T4_,comdat
.Lfunc_end28:
	.size	_Z14sort_keys_fullILj32ELj32ELj1ELb0E6__halfN10test_utils4lessEEvPT3_T4_, .Lfunc_end28-_Z14sort_keys_fullILj32ELj32ELj1ELb0E6__halfN10test_utils4lessEEvPT3_T4_
                                        ; -- End function
	.set _Z14sort_keys_fullILj32ELj32ELj1ELb0E6__halfN10test_utils4lessEEvPT3_T4_.num_vgpr, 16
	.set _Z14sort_keys_fullILj32ELj32ELj1ELb0E6__halfN10test_utils4lessEEvPT3_T4_.num_agpr, 0
	.set _Z14sort_keys_fullILj32ELj32ELj1ELb0E6__halfN10test_utils4lessEEvPT3_T4_.numbered_sgpr, 7
	.set _Z14sort_keys_fullILj32ELj32ELj1ELb0E6__halfN10test_utils4lessEEvPT3_T4_.num_named_barrier, 0
	.set _Z14sort_keys_fullILj32ELj32ELj1ELb0E6__halfN10test_utils4lessEEvPT3_T4_.private_seg_size, 0
	.set _Z14sort_keys_fullILj32ELj32ELj1ELb0E6__halfN10test_utils4lessEEvPT3_T4_.uses_vcc, 1
	.set _Z14sort_keys_fullILj32ELj32ELj1ELb0E6__halfN10test_utils4lessEEvPT3_T4_.uses_flat_scratch, 0
	.set _Z14sort_keys_fullILj32ELj32ELj1ELb0E6__halfN10test_utils4lessEEvPT3_T4_.has_dyn_sized_stack, 0
	.set _Z14sort_keys_fullILj32ELj32ELj1ELb0E6__halfN10test_utils4lessEEvPT3_T4_.has_recursion, 0
	.set _Z14sort_keys_fullILj32ELj32ELj1ELb0E6__halfN10test_utils4lessEEvPT3_T4_.has_indirect_call, 0
	.section	.AMDGPU.csdata,"",@progbits
; Kernel info:
; codeLenInByte = 1252
; TotalNumSgprs: 11
; NumVgprs: 16
; ScratchSize: 0
; MemoryBound: 0
; FloatMode: 240
; IeeeMode: 1
; LDSByteSize: 66 bytes/workgroup (compile time only)
; SGPRBlocks: 1
; VGPRBlocks: 3
; NumSGPRsForWavesPerEU: 11
; NumVGPRsForWavesPerEU: 16
; Occupancy: 10
; WaveLimiterHint : 0
; COMPUTE_PGM_RSRC2:SCRATCH_EN: 0
; COMPUTE_PGM_RSRC2:USER_SGPR: 6
; COMPUTE_PGM_RSRC2:TRAP_HANDLER: 0
; COMPUTE_PGM_RSRC2:TGID_X_EN: 1
; COMPUTE_PGM_RSRC2:TGID_Y_EN: 0
; COMPUTE_PGM_RSRC2:TGID_Z_EN: 0
; COMPUTE_PGM_RSRC2:TIDIG_COMP_CNT: 0
	.section	.text._Z14sort_keys_fullILj512ELj64ELj1ELb0EsN10test_utils4lessEEvPT3_T4_,"axG",@progbits,_Z14sort_keys_fullILj512ELj64ELj1ELb0EsN10test_utils4lessEEvPT3_T4_,comdat
	.protected	_Z14sort_keys_fullILj512ELj64ELj1ELb0EsN10test_utils4lessEEvPT3_T4_ ; -- Begin function _Z14sort_keys_fullILj512ELj64ELj1ELb0EsN10test_utils4lessEEvPT3_T4_
	.globl	_Z14sort_keys_fullILj512ELj64ELj1ELb0EsN10test_utils4lessEEvPT3_T4_
	.p2align	8
	.type	_Z14sort_keys_fullILj512ELj64ELj1ELb0EsN10test_utils4lessEEvPT3_T4_,@function
_Z14sort_keys_fullILj512ELj64ELj1ELb0EsN10test_utils4lessEEvPT3_T4_: ; @_Z14sort_keys_fullILj512ELj64ELj1ELb0EsN10test_utils4lessEEvPT3_T4_
; %bb.0:
	s_load_dwordx2 s[0:1], s[4:5], 0x0
	s_lshl_b32 s2, s6, 9
	s_mov_b32 s3, 0
	s_lshl_b64 s[2:3], s[2:3], 1
	v_lshlrev_b32_e32 v1, 1, v0
	s_waitcnt lgkmcnt(0)
	s_add_u32 s0, s0, s2
	s_addc_u32 s1, s1, s3
	global_load_ushort v12, v1, s[0:1]
	v_mbcnt_lo_u32_b32 v2, -1, 0
	v_mbcnt_hi_u32_b32 v3, -1, v2
	v_and_b32_e32 v5, 0x7e, v3
	v_min_i32_e32 v5, 64, v5
	v_or_b32_e32 v8, 1, v5
	s_movk_i32 s2, 0x82
	v_lshrrev_b32_e32 v0, 6, v0
	v_lshlrev_b32_e32 v4, 1, v3
	v_lshlrev_b32_e32 v9, 1, v5
	v_min_i32_e32 v7, 64, v8
	v_mul_u32_u24_e32 v2, 0x82, v0
	v_and_b32_e32 v6, 1, v3
	v_mad_u32_u24 v4, v0, s2, v4
	v_min_i32_e32 v8, 63, v8
	v_mad_u32_u24 v9, v0, s2, v9
	v_sub_u32_e32 v0, v7, v5
	v_sub_u32_e32 v10, v8, v7
	v_min_i32_e32 v11, v6, v0
	v_mov_b32_e32 v13, s1
	v_add_co_u32_e32 v0, vcc, s0, v1
	v_add_u32_e32 v10, 1, v10
	v_addc_co_u32_e32 v1, vcc, 0, v13, vcc
	v_sub_u32_e32 v14, v6, v10
	v_cmp_ge_i32_e32 vcc, v6, v10
	v_cndmask_b32_e32 v10, 0, v14, vcc
	v_cmp_lt_i32_e32 vcc, v10, v11
	; wave barrier
	s_waitcnt vmcnt(0)
	ds_write_b16 v4, v12
	; wave barrier
	s_and_saveexec_b64 s[0:1], vcc
	s_cbranch_execz .LBB29_4
; %bb.1:
	v_lshlrev_b32_e32 v12, 1, v7
	v_lshlrev_b32_e32 v13, 1, v6
	v_add3_u32 v12, v2, v12, v13
	s_mov_b64 s[2:3], 0
.LBB29_2:                               ; =>This Inner Loop Header: Depth=1
	v_sub_u32_e32 v13, v11, v10
	v_lshrrev_b32_e32 v13, 1, v13
	v_add_u32_e32 v13, v13, v10
	v_not_b32_e32 v15, v13
	v_lshl_add_u32 v14, v13, 1, v9
	v_lshl_add_u32 v15, v15, 1, v12
	ds_read_u16 v14, v14
	ds_read_u16 v15, v15
	v_add_u32_e32 v16, 1, v13
	s_waitcnt lgkmcnt(0)
	v_cmp_lt_i16_e32 vcc, v15, v14
	v_cndmask_b32_e32 v11, v11, v13, vcc
	v_cndmask_b32_e32 v10, v16, v10, vcc
	v_cmp_ge_i32_e32 vcc, v10, v11
	s_or_b64 s[2:3], vcc, s[2:3]
	s_andn2_b64 exec, exec, s[2:3]
	s_cbranch_execnz .LBB29_2
; %bb.3:
	s_or_b64 exec, exec, s[2:3]
.LBB29_4:
	s_or_b64 exec, exec, s[0:1]
	v_add_u32_e32 v6, v7, v6
	v_sub_u32_e32 v6, v6, v10
	v_lshl_add_u32 v9, v10, 1, v9
	v_lshl_add_u32 v11, v6, 1, v2
	ds_read_u16 v9, v9
	ds_read_u16 v11, v11
	v_add_u32_e32 v5, v10, v5
	v_cmp_le_i32_e64 s[0:1], v7, v5
	v_cmp_ge_i32_e32 vcc, v8, v6
	s_waitcnt lgkmcnt(0)
	v_cmp_lt_i16_e64 s[2:3], v11, v9
	s_or_b64 s[0:1], s[0:1], s[2:3]
	s_and_b64 vcc, vcc, s[0:1]
	v_cndmask_b32_e32 v5, v9, v11, vcc
	; wave barrier
	ds_write_b16 v4, v5
	v_and_b32_e32 v5, 0x7c, v3
	v_min_i32_e32 v5, 64, v5
	v_or_b32_e32 v7, 2, v5
	v_min_i32_e32 v6, 64, v7
	v_min_i32_e32 v7, 62, v7
	v_add_u32_e32 v7, 2, v7
	v_and_b32_e32 v8, 3, v3
	v_sub_u32_e32 v9, v7, v6
	v_sub_u32_e32 v11, v6, v5
	;; [unrolled: 1-line block ×3, first 2 shown]
	v_cmp_ge_i32_e32 vcc, v8, v9
	v_cndmask_b32_e32 v9, 0, v12, vcc
	v_min_i32_e32 v11, v8, v11
	v_lshl_add_u32 v10, v5, 1, v2
	v_cmp_lt_i32_e32 vcc, v9, v11
	; wave barrier
	s_and_saveexec_b64 s[0:1], vcc
	s_cbranch_execz .LBB29_8
; %bb.5:
	v_lshlrev_b32_e32 v12, 1, v6
	v_lshlrev_b32_e32 v13, 1, v8
	v_add3_u32 v12, v2, v12, v13
	s_mov_b64 s[2:3], 0
.LBB29_6:                               ; =>This Inner Loop Header: Depth=1
	v_sub_u32_e32 v13, v11, v9
	v_lshrrev_b32_e32 v13, 1, v13
	v_add_u32_e32 v13, v13, v9
	v_not_b32_e32 v15, v13
	v_lshl_add_u32 v14, v13, 1, v10
	v_lshl_add_u32 v15, v15, 1, v12
	ds_read_u16 v14, v14
	ds_read_u16 v15, v15
	v_add_u32_e32 v16, 1, v13
	s_waitcnt lgkmcnt(0)
	v_cmp_lt_i16_e32 vcc, v15, v14
	v_cndmask_b32_e32 v11, v11, v13, vcc
	v_cndmask_b32_e32 v9, v16, v9, vcc
	v_cmp_ge_i32_e32 vcc, v9, v11
	s_or_b64 s[2:3], vcc, s[2:3]
	s_andn2_b64 exec, exec, s[2:3]
	s_cbranch_execnz .LBB29_6
; %bb.7:
	s_or_b64 exec, exec, s[2:3]
.LBB29_8:
	s_or_b64 exec, exec, s[0:1]
	v_add_u32_e32 v8, v6, v8
	v_sub_u32_e32 v8, v8, v9
	v_lshl_add_u32 v10, v9, 1, v10
	v_lshl_add_u32 v11, v8, 1, v2
	ds_read_u16 v10, v10
	ds_read_u16 v11, v11
	v_add_u32_e32 v5, v9, v5
	v_cmp_le_i32_e64 s[0:1], v6, v5
	v_cmp_gt_i32_e32 vcc, v7, v8
	s_waitcnt lgkmcnt(0)
	v_cmp_lt_i16_e64 s[2:3], v11, v10
	s_or_b64 s[0:1], s[0:1], s[2:3]
	s_and_b64 vcc, vcc, s[0:1]
	v_cndmask_b32_e32 v5, v10, v11, vcc
	; wave barrier
	ds_write_b16 v4, v5
	v_and_b32_e32 v5, 0x78, v3
	v_min_i32_e32 v5, 64, v5
	v_or_b32_e32 v7, 4, v5
	v_min_i32_e32 v6, 64, v7
	v_min_i32_e32 v7, 60, v7
	v_add_u32_e32 v7, 4, v7
	v_and_b32_e32 v8, 7, v3
	v_sub_u32_e32 v9, v7, v6
	v_sub_u32_e32 v11, v6, v5
	v_sub_u32_e32 v12, v8, v9
	v_cmp_ge_i32_e32 vcc, v8, v9
	v_cndmask_b32_e32 v9, 0, v12, vcc
	v_min_i32_e32 v11, v8, v11
	v_lshl_add_u32 v10, v5, 1, v2
	v_cmp_lt_i32_e32 vcc, v9, v11
	; wave barrier
	s_and_saveexec_b64 s[0:1], vcc
	s_cbranch_execz .LBB29_12
; %bb.9:
	v_lshlrev_b32_e32 v12, 1, v6
	v_lshlrev_b32_e32 v13, 1, v8
	v_add3_u32 v12, v2, v12, v13
	s_mov_b64 s[2:3], 0
.LBB29_10:                              ; =>This Inner Loop Header: Depth=1
	v_sub_u32_e32 v13, v11, v9
	v_lshrrev_b32_e32 v13, 1, v13
	v_add_u32_e32 v13, v13, v9
	v_not_b32_e32 v15, v13
	v_lshl_add_u32 v14, v13, 1, v10
	v_lshl_add_u32 v15, v15, 1, v12
	ds_read_u16 v14, v14
	ds_read_u16 v15, v15
	v_add_u32_e32 v16, 1, v13
	s_waitcnt lgkmcnt(0)
	v_cmp_lt_i16_e32 vcc, v15, v14
	v_cndmask_b32_e32 v11, v11, v13, vcc
	v_cndmask_b32_e32 v9, v16, v9, vcc
	v_cmp_ge_i32_e32 vcc, v9, v11
	s_or_b64 s[2:3], vcc, s[2:3]
	s_andn2_b64 exec, exec, s[2:3]
	s_cbranch_execnz .LBB29_10
; %bb.11:
	s_or_b64 exec, exec, s[2:3]
.LBB29_12:
	s_or_b64 exec, exec, s[0:1]
	v_add_u32_e32 v8, v6, v8
	v_sub_u32_e32 v8, v8, v9
	v_lshl_add_u32 v10, v9, 1, v10
	v_lshl_add_u32 v11, v8, 1, v2
	ds_read_u16 v10, v10
	ds_read_u16 v11, v11
	v_add_u32_e32 v5, v9, v5
	v_cmp_le_i32_e64 s[0:1], v6, v5
	v_cmp_gt_i32_e32 vcc, v7, v8
	s_waitcnt lgkmcnt(0)
	v_cmp_lt_i16_e64 s[2:3], v11, v10
	s_or_b64 s[0:1], s[0:1], s[2:3]
	s_and_b64 vcc, vcc, s[0:1]
	v_cndmask_b32_e32 v5, v10, v11, vcc
	; wave barrier
	ds_write_b16 v4, v5
	v_and_b32_e32 v5, 0x70, v3
	v_min_i32_e32 v5, 64, v5
	v_or_b32_e32 v7, 8, v5
	v_min_i32_e32 v6, 64, v7
	v_min_i32_e32 v7, 56, v7
	v_add_u32_e32 v7, 8, v7
	v_and_b32_e32 v8, 15, v3
	v_sub_u32_e32 v9, v7, v6
	v_sub_u32_e32 v11, v6, v5
	v_sub_u32_e32 v12, v8, v9
	v_cmp_ge_i32_e32 vcc, v8, v9
	v_cndmask_b32_e32 v9, 0, v12, vcc
	v_min_i32_e32 v11, v8, v11
	v_lshl_add_u32 v10, v5, 1, v2
	v_cmp_lt_i32_e32 vcc, v9, v11
	; wave barrier
	s_and_saveexec_b64 s[0:1], vcc
	s_cbranch_execz .LBB29_16
; %bb.13:
	v_lshlrev_b32_e32 v12, 1, v6
	v_lshlrev_b32_e32 v13, 1, v8
	v_add3_u32 v12, v2, v12, v13
	s_mov_b64 s[2:3], 0
.LBB29_14:                              ; =>This Inner Loop Header: Depth=1
	v_sub_u32_e32 v13, v11, v9
	v_lshrrev_b32_e32 v13, 1, v13
	v_add_u32_e32 v13, v13, v9
	v_not_b32_e32 v15, v13
	v_lshl_add_u32 v14, v13, 1, v10
	v_lshl_add_u32 v15, v15, 1, v12
	ds_read_u16 v14, v14
	ds_read_u16 v15, v15
	v_add_u32_e32 v16, 1, v13
	s_waitcnt lgkmcnt(0)
	v_cmp_lt_i16_e32 vcc, v15, v14
	v_cndmask_b32_e32 v11, v11, v13, vcc
	v_cndmask_b32_e32 v9, v16, v9, vcc
	v_cmp_ge_i32_e32 vcc, v9, v11
	s_or_b64 s[2:3], vcc, s[2:3]
	s_andn2_b64 exec, exec, s[2:3]
	s_cbranch_execnz .LBB29_14
; %bb.15:
	s_or_b64 exec, exec, s[2:3]
.LBB29_16:
	;; [unrolled: 61-line block ×3, first 2 shown]
	s_or_b64 exec, exec, s[0:1]
	v_add_u32_e32 v8, v6, v8
	v_sub_u32_e32 v8, v8, v9
	v_lshl_add_u32 v10, v9, 1, v10
	v_lshl_add_u32 v11, v8, 1, v2
	ds_read_u16 v10, v10
	ds_read_u16 v11, v11
	v_add_u32_e32 v5, v9, v5
	v_cmp_le_i32_e64 s[0:1], v6, v5
	v_cmp_gt_i32_e32 vcc, v7, v8
	s_waitcnt lgkmcnt(0)
	v_cmp_lt_i16_e64 s[2:3], v11, v10
	s_or_b64 s[0:1], s[0:1], s[2:3]
	s_and_b64 vcc, vcc, s[0:1]
	v_cndmask_b32_e32 v5, v10, v11, vcc
	; wave barrier
	ds_write_b16 v4, v5
	v_and_b32_e32 v4, 64, v3
	v_and_b32_e32 v5, 63, v3
	v_or_b32_e32 v3, 32, v4
	v_min_i32_e32 v3, 64, v3
	v_sub_u32_e32 v6, 64, v3
	v_sub_u32_e32 v8, v3, v4
	;; [unrolled: 1-line block ×3, first 2 shown]
	v_cmp_ge_i32_e32 vcc, v5, v6
	v_cndmask_b32_e32 v6, 0, v9, vcc
	v_min_i32_e32 v8, v5, v8
	v_lshl_add_u32 v7, v4, 1, v2
	v_cmp_lt_i32_e32 vcc, v6, v8
	; wave barrier
	s_and_saveexec_b64 s[0:1], vcc
	s_cbranch_execz .LBB29_24
; %bb.21:
	v_lshlrev_b32_e32 v9, 1, v3
	v_lshlrev_b32_e32 v10, 1, v5
	v_add3_u32 v9, v2, v9, v10
	s_mov_b64 s[2:3], 0
.LBB29_22:                              ; =>This Inner Loop Header: Depth=1
	v_sub_u32_e32 v10, v8, v6
	v_lshrrev_b32_e32 v10, 1, v10
	v_add_u32_e32 v10, v10, v6
	v_not_b32_e32 v12, v10
	v_lshl_add_u32 v11, v10, 1, v7
	v_lshl_add_u32 v12, v12, 1, v9
	ds_read_u16 v11, v11
	ds_read_u16 v12, v12
	v_add_u32_e32 v13, 1, v10
	s_waitcnt lgkmcnt(0)
	v_cmp_lt_i16_e32 vcc, v12, v11
	v_cndmask_b32_e32 v8, v8, v10, vcc
	v_cndmask_b32_e32 v6, v13, v6, vcc
	v_cmp_ge_i32_e32 vcc, v6, v8
	s_or_b64 s[2:3], vcc, s[2:3]
	s_andn2_b64 exec, exec, s[2:3]
	s_cbranch_execnz .LBB29_22
; %bb.23:
	s_or_b64 exec, exec, s[2:3]
.LBB29_24:
	s_or_b64 exec, exec, s[0:1]
	v_add_u32_e32 v5, v3, v5
	v_sub_u32_e32 v5, v5, v6
	v_lshl_add_u32 v7, v6, 1, v7
	v_lshl_add_u32 v2, v5, 1, v2
	ds_read_u16 v7, v7
	ds_read_u16 v2, v2
	v_add_u32_e32 v4, v6, v4
	v_cmp_le_i32_e64 s[0:1], v3, v4
	v_cmp_gt_i32_e32 vcc, 64, v5
	s_waitcnt lgkmcnt(0)
	v_cmp_lt_i16_e64 s[2:3], v2, v7
	s_or_b64 s[0:1], s[0:1], s[2:3]
	s_and_b64 vcc, vcc, s[0:1]
	v_cndmask_b32_e32 v2, v7, v2, vcc
	global_store_short v[0:1], v2, off
	s_endpgm
	.section	.rodata,"a",@progbits
	.p2align	6, 0x0
	.amdhsa_kernel _Z14sort_keys_fullILj512ELj64ELj1ELb0EsN10test_utils4lessEEvPT3_T4_
		.amdhsa_group_segment_fixed_size 1040
		.amdhsa_private_segment_fixed_size 0
		.amdhsa_kernarg_size 12
		.amdhsa_user_sgpr_count 6
		.amdhsa_user_sgpr_private_segment_buffer 1
		.amdhsa_user_sgpr_dispatch_ptr 0
		.amdhsa_user_sgpr_queue_ptr 0
		.amdhsa_user_sgpr_kernarg_segment_ptr 1
		.amdhsa_user_sgpr_dispatch_id 0
		.amdhsa_user_sgpr_flat_scratch_init 0
		.amdhsa_user_sgpr_private_segment_size 0
		.amdhsa_uses_dynamic_stack 0
		.amdhsa_system_sgpr_private_segment_wavefront_offset 0
		.amdhsa_system_sgpr_workgroup_id_x 1
		.amdhsa_system_sgpr_workgroup_id_y 0
		.amdhsa_system_sgpr_workgroup_id_z 0
		.amdhsa_system_sgpr_workgroup_info 0
		.amdhsa_system_vgpr_workitem_id 0
		.amdhsa_next_free_vgpr 17
		.amdhsa_next_free_sgpr 7
		.amdhsa_reserve_vcc 1
		.amdhsa_reserve_flat_scratch 0
		.amdhsa_float_round_mode_32 0
		.amdhsa_float_round_mode_16_64 0
		.amdhsa_float_denorm_mode_32 3
		.amdhsa_float_denorm_mode_16_64 3
		.amdhsa_dx10_clamp 1
		.amdhsa_ieee_mode 1
		.amdhsa_fp16_overflow 0
		.amdhsa_exception_fp_ieee_invalid_op 0
		.amdhsa_exception_fp_denorm_src 0
		.amdhsa_exception_fp_ieee_div_zero 0
		.amdhsa_exception_fp_ieee_overflow 0
		.amdhsa_exception_fp_ieee_underflow 0
		.amdhsa_exception_fp_ieee_inexact 0
		.amdhsa_exception_int_div_zero 0
	.end_amdhsa_kernel
	.section	.text._Z14sort_keys_fullILj512ELj64ELj1ELb0EsN10test_utils4lessEEvPT3_T4_,"axG",@progbits,_Z14sort_keys_fullILj512ELj64ELj1ELb0EsN10test_utils4lessEEvPT3_T4_,comdat
.Lfunc_end29:
	.size	_Z14sort_keys_fullILj512ELj64ELj1ELb0EsN10test_utils4lessEEvPT3_T4_, .Lfunc_end29-_Z14sort_keys_fullILj512ELj64ELj1ELb0EsN10test_utils4lessEEvPT3_T4_
                                        ; -- End function
	.set _Z14sort_keys_fullILj512ELj64ELj1ELb0EsN10test_utils4lessEEvPT3_T4_.num_vgpr, 17
	.set _Z14sort_keys_fullILj512ELj64ELj1ELb0EsN10test_utils4lessEEvPT3_T4_.num_agpr, 0
	.set _Z14sort_keys_fullILj512ELj64ELj1ELb0EsN10test_utils4lessEEvPT3_T4_.numbered_sgpr, 7
	.set _Z14sort_keys_fullILj512ELj64ELj1ELb0EsN10test_utils4lessEEvPT3_T4_.num_named_barrier, 0
	.set _Z14sort_keys_fullILj512ELj64ELj1ELb0EsN10test_utils4lessEEvPT3_T4_.private_seg_size, 0
	.set _Z14sort_keys_fullILj512ELj64ELj1ELb0EsN10test_utils4lessEEvPT3_T4_.uses_vcc, 1
	.set _Z14sort_keys_fullILj512ELj64ELj1ELb0EsN10test_utils4lessEEvPT3_T4_.uses_flat_scratch, 0
	.set _Z14sort_keys_fullILj512ELj64ELj1ELb0EsN10test_utils4lessEEvPT3_T4_.has_dyn_sized_stack, 0
	.set _Z14sort_keys_fullILj512ELj64ELj1ELb0EsN10test_utils4lessEEvPT3_T4_.has_recursion, 0
	.set _Z14sort_keys_fullILj512ELj64ELj1ELb0EsN10test_utils4lessEEvPT3_T4_.has_indirect_call, 0
	.section	.AMDGPU.csdata,"",@progbits
; Kernel info:
; codeLenInByte = 1760
; TotalNumSgprs: 11
; NumVgprs: 17
; ScratchSize: 0
; MemoryBound: 0
; FloatMode: 240
; IeeeMode: 1
; LDSByteSize: 1040 bytes/workgroup (compile time only)
; SGPRBlocks: 1
; VGPRBlocks: 4
; NumSGPRsForWavesPerEU: 11
; NumVGPRsForWavesPerEU: 17
; Occupancy: 10
; WaveLimiterHint : 0
; COMPUTE_PGM_RSRC2:SCRATCH_EN: 0
; COMPUTE_PGM_RSRC2:USER_SGPR: 6
; COMPUTE_PGM_RSRC2:TRAP_HANDLER: 0
; COMPUTE_PGM_RSRC2:TGID_X_EN: 1
; COMPUTE_PGM_RSRC2:TGID_Y_EN: 0
; COMPUTE_PGM_RSRC2:TGID_Z_EN: 0
; COMPUTE_PGM_RSRC2:TIDIG_COMP_CNT: 0
	.section	.text._Z14sort_keys_fullILj32ELj32ELj1ELb0EdN10test_utils4lessEEvPT3_T4_,"axG",@progbits,_Z14sort_keys_fullILj32ELj32ELj1ELb0EdN10test_utils4lessEEvPT3_T4_,comdat
	.protected	_Z14sort_keys_fullILj32ELj32ELj1ELb0EdN10test_utils4lessEEvPT3_T4_ ; -- Begin function _Z14sort_keys_fullILj32ELj32ELj1ELb0EdN10test_utils4lessEEvPT3_T4_
	.globl	_Z14sort_keys_fullILj32ELj32ELj1ELb0EdN10test_utils4lessEEvPT3_T4_
	.p2align	8
	.type	_Z14sort_keys_fullILj32ELj32ELj1ELb0EdN10test_utils4lessEEvPT3_T4_,@function
_Z14sort_keys_fullILj32ELj32ELj1ELb0EdN10test_utils4lessEEvPT3_T4_: ; @_Z14sort_keys_fullILj32ELj32ELj1ELb0EdN10test_utils4lessEEvPT3_T4_
; %bb.0:
	s_load_dwordx2 s[0:1], s[4:5], 0x0
	s_lshl_b32 s2, s6, 5
	s_mov_b32 s3, 0
	s_lshl_b64 s[2:3], s[2:3], 3
	v_lshlrev_b32_e32 v0, 3, v0
	s_waitcnt lgkmcnt(0)
	s_add_u32 s0, s0, s2
	s_addc_u32 s1, s1, s3
	global_load_dwordx2 v[9:10], v0, s[0:1]
	v_mbcnt_lo_u32_b32 v1, -1, 0
	v_mbcnt_hi_u32_b32 v4, -1, v1
	v_and_b32_e32 v8, 30, v4
	v_or_b32_e32 v6, 1, v8
	v_and_b32_e32 v7, 1, v4
	v_sub_u32_e32 v1, v6, v8
	v_and_b32_e32 v2, 31, v4
	v_min_i32_e32 v1, v7, v1
	v_lshlrev_b32_e32 v3, 3, v2
	v_cmp_lt_i32_e32 vcc, 0, v1
	v_mov_b32_e32 v1, s1
	v_add_co_u32_e64 v0, s[0:1], s0, v0
	v_mov_b32_e32 v5, 0
	; wave barrier
	v_addc_co_u32_e64 v1, s[0:1], 0, v1, s[0:1]
	s_waitcnt vmcnt(0)
	ds_write_b64 v3, v[9:10]
	v_lshlrev_b32_e32 v9, 3, v8
	; wave barrier
	s_and_saveexec_b64 s[0:1], vcc
	s_cbranch_execz .LBB30_4
; %bb.1:
	v_lshl_add_u32 v10, v7, 3, v9
	v_mov_b32_e32 v11, 1
	s_mov_b64 s[2:3], 0
.LBB30_2:                               ; =>This Inner Loop Header: Depth=1
	v_sub_u32_e32 v12, v11, v5
	v_lshrrev_b32_e32 v12, 1, v12
	v_add_u32_e32 v16, v12, v5
	v_not_b32_e32 v13, v16
	v_lshl_add_u32 v12, v16, 3, v9
	v_lshl_add_u32 v14, v13, 3, v10
	ds_read_b64 v[12:13], v12
	ds_read_b64 v[14:15], v14 offset:8
	s_waitcnt lgkmcnt(0)
	v_cmp_lt_f64_e32 vcc, v[14:15], v[12:13]
	v_add_u32_e32 v12, 1, v16
	v_cndmask_b32_e32 v11, v11, v16, vcc
	v_cndmask_b32_e32 v5, v12, v5, vcc
	v_cmp_ge_i32_e32 vcc, v5, v11
	s_or_b64 s[2:3], vcc, s[2:3]
	s_andn2_b64 exec, exec, s[2:3]
	s_cbranch_execnz .LBB30_2
; %bb.3:
	s_or_b64 exec, exec, s[2:3]
.LBB30_4:
	s_or_b64 exec, exec, s[0:1]
	v_add_u32_e32 v8, v8, v7
	v_sub_u32_e32 v8, v8, v5
	v_lshl_add_u32 v9, v5, 3, v9
	v_lshlrev_b32_e32 v10, 3, v8
	ds_read_b64 v[8:9], v9
	ds_read_b64 v[10:11], v10 offset:8
	v_add_u32_e32 v7, v6, v7
	v_cmp_lt_i32_e64 s[0:1], 0, v5
	v_sub_u32_e32 v5, v7, v5
	v_cmp_ge_i32_e64 s[2:3], v6, v5
	s_waitcnt lgkmcnt(0)
	v_cmp_lt_f64_e32 vcc, v[10:11], v[8:9]
	; wave barrier
	s_or_b64 s[0:1], s[0:1], vcc
	s_and_b64 vcc, s[2:3], s[0:1]
	v_cndmask_b32_e32 v6, v9, v11, vcc
	v_cndmask_b32_e32 v5, v8, v10, vcc
	ds_write_b64 v3, v[5:6]
	v_and_b32_e32 v5, 28, v4
	v_or_b32_e32 v7, 2, v5
	v_and_b32_e32 v6, 3, v4
	v_sub_u32_e32 v9, v7, v5
	v_sub_u32_e64 v8, v6, 2 clamp
	v_min_i32_e32 v10, v6, v9
	v_cmp_lt_i32_e32 vcc, v8, v10
	v_lshlrev_b32_e32 v9, 3, v5
	; wave barrier
	s_and_saveexec_b64 s[0:1], vcc
	s_cbranch_execz .LBB30_8
; %bb.5:
	v_lshl_add_u32 v11, v6, 3, v9
	s_mov_b64 s[2:3], 0
.LBB30_6:                               ; =>This Inner Loop Header: Depth=1
	v_sub_u32_e32 v12, v10, v8
	v_lshrrev_b32_e32 v12, 1, v12
	v_add_u32_e32 v16, v12, v8
	v_not_b32_e32 v13, v16
	v_lshl_add_u32 v12, v16, 3, v9
	v_lshl_add_u32 v14, v13, 3, v11
	ds_read_b64 v[12:13], v12
	ds_read_b64 v[14:15], v14 offset:16
	s_waitcnt lgkmcnt(0)
	v_cmp_lt_f64_e32 vcc, v[14:15], v[12:13]
	v_add_u32_e32 v12, 1, v16
	v_cndmask_b32_e32 v10, v10, v16, vcc
	v_cndmask_b32_e32 v8, v12, v8, vcc
	v_cmp_ge_i32_e32 vcc, v8, v10
	s_or_b64 s[2:3], vcc, s[2:3]
	s_andn2_b64 exec, exec, s[2:3]
	s_cbranch_execnz .LBB30_6
; %bb.7:
	s_or_b64 exec, exec, s[2:3]
.LBB30_8:
	s_or_b64 exec, exec, s[0:1]
	v_add_u32_e32 v10, v5, v6
	v_sub_u32_e32 v10, v10, v8
	v_lshl_add_u32 v9, v8, 3, v9
	v_lshlrev_b32_e32 v11, 3, v10
	ds_read_b64 v[9:10], v9
	ds_read_b64 v[11:12], v11 offset:16
	v_add_u32_e32 v6, v7, v6
	v_add_u32_e32 v5, 4, v5
	v_cmp_lt_i32_e64 s[0:1], 1, v8
	v_sub_u32_e32 v6, v6, v8
	s_waitcnt lgkmcnt(0)
	v_cmp_lt_f64_e32 vcc, v[11:12], v[9:10]
	v_cmp_gt_i32_e64 s[2:3], v5, v6
	; wave barrier
	s_or_b64 s[0:1], s[0:1], vcc
	s_and_b64 vcc, s[2:3], s[0:1]
	v_cndmask_b32_e32 v6, v10, v12, vcc
	v_cndmask_b32_e32 v5, v9, v11, vcc
	ds_write_b64 v3, v[5:6]
	v_and_b32_e32 v5, 24, v4
	v_or_b32_e32 v7, 4, v5
	v_and_b32_e32 v6, 7, v4
	v_sub_u32_e32 v9, v7, v5
	v_sub_u32_e64 v8, v6, 4 clamp
	v_min_i32_e32 v10, v6, v9
	v_cmp_lt_i32_e32 vcc, v8, v10
	v_lshlrev_b32_e32 v9, 3, v5
	; wave barrier
	s_and_saveexec_b64 s[0:1], vcc
	s_cbranch_execz .LBB30_12
; %bb.9:
	v_lshl_add_u32 v11, v6, 3, v9
	s_mov_b64 s[2:3], 0
.LBB30_10:                              ; =>This Inner Loop Header: Depth=1
	v_sub_u32_e32 v12, v10, v8
	v_lshrrev_b32_e32 v12, 1, v12
	v_add_u32_e32 v16, v12, v8
	v_not_b32_e32 v13, v16
	v_lshl_add_u32 v12, v16, 3, v9
	v_lshl_add_u32 v14, v13, 3, v11
	ds_read_b64 v[12:13], v12
	ds_read_b64 v[14:15], v14 offset:32
	s_waitcnt lgkmcnt(0)
	v_cmp_lt_f64_e32 vcc, v[14:15], v[12:13]
	v_add_u32_e32 v12, 1, v16
	v_cndmask_b32_e32 v10, v10, v16, vcc
	v_cndmask_b32_e32 v8, v12, v8, vcc
	v_cmp_ge_i32_e32 vcc, v8, v10
	s_or_b64 s[2:3], vcc, s[2:3]
	s_andn2_b64 exec, exec, s[2:3]
	s_cbranch_execnz .LBB30_10
; %bb.11:
	s_or_b64 exec, exec, s[2:3]
.LBB30_12:
	s_or_b64 exec, exec, s[0:1]
	v_add_u32_e32 v10, v5, v6
	v_sub_u32_e32 v10, v10, v8
	v_lshl_add_u32 v9, v8, 3, v9
	v_lshlrev_b32_e32 v11, 3, v10
	ds_read_b64 v[9:10], v9
	ds_read_b64 v[11:12], v11 offset:32
	v_add_u32_e32 v6, v7, v6
	v_add_u32_e32 v5, 8, v5
	v_cmp_lt_i32_e64 s[0:1], 3, v8
	v_sub_u32_e32 v6, v6, v8
	s_waitcnt lgkmcnt(0)
	v_cmp_lt_f64_e32 vcc, v[11:12], v[9:10]
	v_cmp_gt_i32_e64 s[2:3], v5, v6
	; wave barrier
	s_or_b64 s[0:1], s[0:1], vcc
	s_and_b64 vcc, s[2:3], s[0:1]
	v_cndmask_b32_e32 v6, v10, v12, vcc
	v_cndmask_b32_e32 v5, v9, v11, vcc
	ds_write_b64 v3, v[5:6]
	v_and_b32_e32 v5, 16, v4
	v_or_b32_e32 v6, 8, v5
	v_and_b32_e32 v4, 15, v4
	v_sub_u32_e32 v8, v6, v5
	v_sub_u32_e64 v7, v4, 8 clamp
	v_min_i32_e32 v9, v4, v8
	v_cmp_lt_i32_e32 vcc, v7, v9
	v_lshlrev_b32_e32 v8, 3, v5
	; wave barrier
	s_and_saveexec_b64 s[0:1], vcc
	s_cbranch_execz .LBB30_16
; %bb.13:
	v_lshl_add_u32 v10, v4, 3, v8
	s_mov_b64 s[2:3], 0
.LBB30_14:                              ; =>This Inner Loop Header: Depth=1
	v_sub_u32_e32 v11, v9, v7
	v_lshrrev_b32_e32 v11, 1, v11
	v_add_u32_e32 v15, v11, v7
	v_not_b32_e32 v12, v15
	v_lshl_add_u32 v11, v15, 3, v8
	v_lshl_add_u32 v13, v12, 3, v10
	ds_read_b64 v[11:12], v11
	ds_read_b64 v[13:14], v13 offset:64
	s_waitcnt lgkmcnt(0)
	v_cmp_lt_f64_e32 vcc, v[13:14], v[11:12]
	v_add_u32_e32 v11, 1, v15
	v_cndmask_b32_e32 v9, v9, v15, vcc
	v_cndmask_b32_e32 v7, v11, v7, vcc
	v_cmp_ge_i32_e32 vcc, v7, v9
	s_or_b64 s[2:3], vcc, s[2:3]
	s_andn2_b64 exec, exec, s[2:3]
	s_cbranch_execnz .LBB30_14
; %bb.15:
	s_or_b64 exec, exec, s[2:3]
.LBB30_16:
	s_or_b64 exec, exec, s[0:1]
	v_add_u32_e32 v9, v5, v4
	v_sub_u32_e32 v9, v9, v7
	v_lshl_add_u32 v8, v7, 3, v8
	v_lshlrev_b32_e32 v10, 3, v9
	ds_read_b64 v[8:9], v8
	ds_read_b64 v[10:11], v10 offset:64
	v_add_u32_e32 v4, v6, v4
	v_add_u32_e32 v5, 16, v5
	v_cmp_lt_i32_e64 s[0:1], 7, v7
	v_sub_u32_e32 v4, v4, v7
	s_waitcnt lgkmcnt(0)
	v_cmp_lt_f64_e32 vcc, v[10:11], v[8:9]
	v_cmp_gt_i32_e64 s[2:3], v5, v4
	; wave barrier
	s_or_b64 s[0:1], s[0:1], vcc
	s_and_b64 vcc, s[2:3], s[0:1]
	v_cndmask_b32_e32 v5, v9, v11, vcc
	v_cndmask_b32_e32 v4, v8, v10, vcc
	ds_write_b64 v3, v[4:5]
	v_sub_u32_e64 v4, v2, 16 clamp
	v_min_u32_e32 v5, 16, v2
	v_cmp_lt_u32_e32 vcc, v4, v5
	; wave barrier
	s_and_saveexec_b64 s[0:1], vcc
	s_cbranch_execz .LBB30_20
; %bb.17:
	s_mov_b64 s[2:3], 0
.LBB30_18:                              ; =>This Inner Loop Header: Depth=1
	v_sub_u32_e32 v6, v5, v4
	v_lshrrev_b32_e32 v6, 1, v6
	v_add_u32_e32 v10, v6, v4
	v_not_b32_e32 v7, v10
	v_lshlrev_b32_e32 v6, 3, v10
	v_lshl_add_u32 v8, v7, 3, v3
	ds_read_b64 v[6:7], v6
	ds_read_b64 v[8:9], v8 offset:128
	s_waitcnt lgkmcnt(0)
	v_cmp_lt_f64_e32 vcc, v[8:9], v[6:7]
	v_add_u32_e32 v6, 1, v10
	v_cndmask_b32_e32 v5, v5, v10, vcc
	v_cndmask_b32_e32 v4, v6, v4, vcc
	v_cmp_ge_i32_e32 vcc, v4, v5
	s_or_b64 s[2:3], vcc, s[2:3]
	s_andn2_b64 exec, exec, s[2:3]
	s_cbranch_execnz .LBB30_18
; %bb.19:
	s_or_b64 exec, exec, s[2:3]
.LBB30_20:
	s_or_b64 exec, exec, s[0:1]
	v_sub_u32_e32 v7, v2, v4
	v_lshlrev_b32_e32 v2, 3, v4
	v_lshlrev_b32_e32 v5, 3, v7
	ds_read_b64 v[2:3], v2
	ds_read_b64 v[5:6], v5 offset:128
	v_cmp_lt_i32_e64 s[0:1], 15, v4
	v_add_u32_e32 v4, 16, v7
	v_cmp_gt_i32_e64 s[2:3], 32, v4
	s_waitcnt lgkmcnt(0)
	v_cmp_lt_f64_e32 vcc, v[5:6], v[2:3]
	s_or_b64 s[0:1], s[0:1], vcc
	s_and_b64 vcc, s[2:3], s[0:1]
	v_cndmask_b32_e32 v3, v3, v6, vcc
	v_cndmask_b32_e32 v2, v2, v5, vcc
	global_store_dwordx2 v[0:1], v[2:3], off
	s_endpgm
	.section	.rodata,"a",@progbits
	.p2align	6, 0x0
	.amdhsa_kernel _Z14sort_keys_fullILj32ELj32ELj1ELb0EdN10test_utils4lessEEvPT3_T4_
		.amdhsa_group_segment_fixed_size 264
		.amdhsa_private_segment_fixed_size 0
		.amdhsa_kernarg_size 12
		.amdhsa_user_sgpr_count 6
		.amdhsa_user_sgpr_private_segment_buffer 1
		.amdhsa_user_sgpr_dispatch_ptr 0
		.amdhsa_user_sgpr_queue_ptr 0
		.amdhsa_user_sgpr_kernarg_segment_ptr 1
		.amdhsa_user_sgpr_dispatch_id 0
		.amdhsa_user_sgpr_flat_scratch_init 0
		.amdhsa_user_sgpr_private_segment_size 0
		.amdhsa_uses_dynamic_stack 0
		.amdhsa_system_sgpr_private_segment_wavefront_offset 0
		.amdhsa_system_sgpr_workgroup_id_x 1
		.amdhsa_system_sgpr_workgroup_id_y 0
		.amdhsa_system_sgpr_workgroup_id_z 0
		.amdhsa_system_sgpr_workgroup_info 0
		.amdhsa_system_vgpr_workitem_id 0
		.amdhsa_next_free_vgpr 17
		.amdhsa_next_free_sgpr 7
		.amdhsa_reserve_vcc 1
		.amdhsa_reserve_flat_scratch 0
		.amdhsa_float_round_mode_32 0
		.amdhsa_float_round_mode_16_64 0
		.amdhsa_float_denorm_mode_32 3
		.amdhsa_float_denorm_mode_16_64 3
		.amdhsa_dx10_clamp 1
		.amdhsa_ieee_mode 1
		.amdhsa_fp16_overflow 0
		.amdhsa_exception_fp_ieee_invalid_op 0
		.amdhsa_exception_fp_denorm_src 0
		.amdhsa_exception_fp_ieee_div_zero 0
		.amdhsa_exception_fp_ieee_overflow 0
		.amdhsa_exception_fp_ieee_underflow 0
		.amdhsa_exception_fp_ieee_inexact 0
		.amdhsa_exception_int_div_zero 0
	.end_amdhsa_kernel
	.section	.text._Z14sort_keys_fullILj32ELj32ELj1ELb0EdN10test_utils4lessEEvPT3_T4_,"axG",@progbits,_Z14sort_keys_fullILj32ELj32ELj1ELb0EdN10test_utils4lessEEvPT3_T4_,comdat
.Lfunc_end30:
	.size	_Z14sort_keys_fullILj32ELj32ELj1ELb0EdN10test_utils4lessEEvPT3_T4_, .Lfunc_end30-_Z14sort_keys_fullILj32ELj32ELj1ELb0EdN10test_utils4lessEEvPT3_T4_
                                        ; -- End function
	.set _Z14sort_keys_fullILj32ELj32ELj1ELb0EdN10test_utils4lessEEvPT3_T4_.num_vgpr, 17
	.set _Z14sort_keys_fullILj32ELj32ELj1ELb0EdN10test_utils4lessEEvPT3_T4_.num_agpr, 0
	.set _Z14sort_keys_fullILj32ELj32ELj1ELb0EdN10test_utils4lessEEvPT3_T4_.numbered_sgpr, 7
	.set _Z14sort_keys_fullILj32ELj32ELj1ELb0EdN10test_utils4lessEEvPT3_T4_.num_named_barrier, 0
	.set _Z14sort_keys_fullILj32ELj32ELj1ELb0EdN10test_utils4lessEEvPT3_T4_.private_seg_size, 0
	.set _Z14sort_keys_fullILj32ELj32ELj1ELb0EdN10test_utils4lessEEvPT3_T4_.uses_vcc, 1
	.set _Z14sort_keys_fullILj32ELj32ELj1ELb0EdN10test_utils4lessEEvPT3_T4_.uses_flat_scratch, 0
	.set _Z14sort_keys_fullILj32ELj32ELj1ELb0EdN10test_utils4lessEEvPT3_T4_.has_dyn_sized_stack, 0
	.set _Z14sort_keys_fullILj32ELj32ELj1ELb0EdN10test_utils4lessEEvPT3_T4_.has_recursion, 0
	.set _Z14sort_keys_fullILj32ELj32ELj1ELb0EdN10test_utils4lessEEvPT3_T4_.has_indirect_call, 0
	.section	.AMDGPU.csdata,"",@progbits
; Kernel info:
; codeLenInByte = 1272
; TotalNumSgprs: 11
; NumVgprs: 17
; ScratchSize: 0
; MemoryBound: 0
; FloatMode: 240
; IeeeMode: 1
; LDSByteSize: 264 bytes/workgroup (compile time only)
; SGPRBlocks: 1
; VGPRBlocks: 4
; NumSGPRsForWavesPerEU: 11
; NumVGPRsForWavesPerEU: 17
; Occupancy: 10
; WaveLimiterHint : 0
; COMPUTE_PGM_RSRC2:SCRATCH_EN: 0
; COMPUTE_PGM_RSRC2:USER_SGPR: 6
; COMPUTE_PGM_RSRC2:TRAP_HANDLER: 0
; COMPUTE_PGM_RSRC2:TGID_X_EN: 1
; COMPUTE_PGM_RSRC2:TGID_Y_EN: 0
; COMPUTE_PGM_RSRC2:TGID_Z_EN: 0
; COMPUTE_PGM_RSRC2:TIDIG_COMP_CNT: 0
	.section	.text._Z14sort_keys_fullILj64ELj16ELj1ELb0EfN10test_utils4lessEEvPT3_T4_,"axG",@progbits,_Z14sort_keys_fullILj64ELj16ELj1ELb0EfN10test_utils4lessEEvPT3_T4_,comdat
	.protected	_Z14sort_keys_fullILj64ELj16ELj1ELb0EfN10test_utils4lessEEvPT3_T4_ ; -- Begin function _Z14sort_keys_fullILj64ELj16ELj1ELb0EfN10test_utils4lessEEvPT3_T4_
	.globl	_Z14sort_keys_fullILj64ELj16ELj1ELb0EfN10test_utils4lessEEvPT3_T4_
	.p2align	8
	.type	_Z14sort_keys_fullILj64ELj16ELj1ELb0EfN10test_utils4lessEEvPT3_T4_,@function
_Z14sort_keys_fullILj64ELj16ELj1ELb0EfN10test_utils4lessEEvPT3_T4_: ; @_Z14sort_keys_fullILj64ELj16ELj1ELb0EfN10test_utils4lessEEvPT3_T4_
; %bb.0:
	s_load_dwordx2 s[0:1], s[4:5], 0x0
	s_lshl_b32 s2, s6, 6
	s_mov_b32 s3, 0
	s_lshl_b64 s[2:3], s[2:3], 2
	v_lshlrev_b32_e32 v1, 2, v0
	s_waitcnt lgkmcnt(0)
	s_add_u32 s0, s0, s2
	s_addc_u32 s1, s1, s3
	global_load_dword v10, v1, s[0:1]
	v_mbcnt_lo_u32_b32 v2, -1, 0
	v_mbcnt_hi_u32_b32 v5, -1, v2
	v_and_b32_e32 v3, 15, v5
	v_and_b32_e32 v9, 14, v5
	s_movk_i32 s2, 0x44
	v_lshrrev_b32_e32 v0, 4, v0
	v_lshlrev_b32_e32 v4, 2, v3
	v_or_b32_e32 v8, 1, v9
	v_mul_u32_u24_e32 v2, 0x44, v0
	v_and_b32_e32 v7, 1, v5
	v_mad_u32_u24 v4, v0, s2, v4
	v_sub_u32_e32 v0, v8, v9
	v_min_i32_e32 v11, v7, v0
	v_mov_b32_e32 v12, s1
	v_add_co_u32_e32 v0, vcc, s0, v1
	v_addc_co_u32_e32 v1, vcc, 0, v12, vcc
	v_mov_b32_e32 v6, 0
	v_cmp_lt_i32_e32 vcc, 0, v11
	; wave barrier
	s_waitcnt vmcnt(0)
	ds_write_b32 v4, v10
	; wave barrier
	s_and_saveexec_b64 s[0:1], vcc
	s_cbranch_execz .LBB31_4
; %bb.1:
	v_lshl_add_u32 v10, v9, 2, v2
	v_lshl_add_u32 v11, v7, 2, v10
	v_mov_b32_e32 v12, 1
	v_mov_b32_e32 v6, 0
	s_mov_b64 s[2:3], 0
.LBB31_2:                               ; =>This Inner Loop Header: Depth=1
	v_sub_u32_e32 v13, v12, v6
	v_lshrrev_b32_e32 v13, 1, v13
	v_add_u32_e32 v13, v13, v6
	v_not_b32_e32 v15, v13
	v_lshl_add_u32 v14, v13, 2, v10
	v_lshl_add_u32 v15, v15, 2, v11
	ds_read_b32 v14, v14
	ds_read_b32 v15, v15 offset:4
	v_add_u32_e32 v16, 1, v13
	s_waitcnt lgkmcnt(0)
	v_cmp_lt_f32_e32 vcc, v15, v14
	v_cndmask_b32_e32 v12, v12, v13, vcc
	v_cndmask_b32_e32 v6, v16, v6, vcc
	v_cmp_ge_i32_e32 vcc, v6, v12
	s_or_b64 s[2:3], vcc, s[2:3]
	s_andn2_b64 exec, exec, s[2:3]
	s_cbranch_execnz .LBB31_2
; %bb.3:
	s_or_b64 exec, exec, s[2:3]
.LBB31_4:
	s_or_b64 exec, exec, s[0:1]
	v_lshlrev_b32_e32 v11, 2, v9
	v_add_u32_e32 v9, v9, v7
	v_lshlrev_b32_e32 v10, 2, v6
	v_sub_u32_e32 v9, v9, v6
	v_add3_u32 v10, v2, v10, v11
	v_lshl_add_u32 v9, v9, 2, v2
	ds_read_b32 v10, v10
	ds_read_b32 v9, v9 offset:4
	v_add_u32_e32 v7, v8, v7
	v_sub_u32_e32 v7, v7, v6
	v_cmp_lt_i32_e64 s[0:1], 0, v6
	v_cmp_ge_i32_e32 vcc, v8, v7
	s_waitcnt lgkmcnt(0)
	v_cmp_lt_f32_e64 s[2:3], v9, v10
	s_or_b64 s[0:1], s[0:1], s[2:3]
	s_and_b64 vcc, vcc, s[0:1]
	v_cndmask_b32_e32 v6, v10, v9, vcc
	v_and_b32_e32 v9, 12, v5
	v_or_b32_e32 v8, 2, v9
	; wave barrier
	ds_write_b32 v4, v6
	v_and_b32_e32 v6, 3, v5
	v_sub_u32_e32 v10, v8, v9
	v_sub_u32_e64 v7, v6, 2 clamp
	v_min_i32_e32 v10, v6, v10
	v_cmp_lt_i32_e32 vcc, v7, v10
	; wave barrier
	s_and_saveexec_b64 s[0:1], vcc
	s_cbranch_execz .LBB31_8
; %bb.5:
	v_lshl_add_u32 v11, v9, 2, v2
	v_lshl_add_u32 v12, v6, 2, v11
	s_mov_b64 s[2:3], 0
.LBB31_6:                               ; =>This Inner Loop Header: Depth=1
	v_sub_u32_e32 v13, v10, v7
	v_lshrrev_b32_e32 v13, 1, v13
	v_add_u32_e32 v13, v13, v7
	v_not_b32_e32 v15, v13
	v_lshl_add_u32 v14, v13, 2, v11
	v_lshl_add_u32 v15, v15, 2, v12
	ds_read_b32 v14, v14
	ds_read_b32 v15, v15 offset:8
	v_add_u32_e32 v16, 1, v13
	s_waitcnt lgkmcnt(0)
	v_cmp_lt_f32_e32 vcc, v15, v14
	v_cndmask_b32_e32 v10, v10, v13, vcc
	v_cndmask_b32_e32 v7, v16, v7, vcc
	v_cmp_ge_i32_e32 vcc, v7, v10
	s_or_b64 s[2:3], vcc, s[2:3]
	s_andn2_b64 exec, exec, s[2:3]
	s_cbranch_execnz .LBB31_6
; %bb.7:
	s_or_b64 exec, exec, s[2:3]
.LBB31_8:
	s_or_b64 exec, exec, s[0:1]
	v_add_u32_e32 v10, 4, v9
	v_lshlrev_b32_e32 v12, 2, v9
	v_add_u32_e32 v9, v9, v6
	v_lshlrev_b32_e32 v11, 2, v7
	v_sub_u32_e32 v9, v9, v7
	v_add3_u32 v11, v2, v11, v12
	v_lshl_add_u32 v9, v9, 2, v2
	ds_read_b32 v11, v11
	ds_read_b32 v9, v9 offset:8
	v_add_u32_e32 v6, v8, v6
	v_sub_u32_e32 v6, v6, v7
	v_cmp_lt_i32_e64 s[0:1], 1, v7
	v_cmp_gt_i32_e32 vcc, v10, v6
	s_waitcnt lgkmcnt(0)
	v_cmp_lt_f32_e64 s[2:3], v9, v11
	s_or_b64 s[0:1], s[0:1], s[2:3]
	v_and_b32_e32 v8, 8, v5
	s_and_b64 vcc, vcc, s[0:1]
	v_or_b32_e32 v7, 4, v8
	v_cndmask_b32_e32 v6, v11, v9, vcc
	v_and_b32_e32 v5, 7, v5
	v_sub_u32_e32 v9, v7, v8
	; wave barrier
	ds_write_b32 v4, v6
	v_sub_u32_e64 v6, v5, 4 clamp
	v_min_i32_e32 v9, v5, v9
	v_cmp_lt_i32_e32 vcc, v6, v9
	; wave barrier
	s_and_saveexec_b64 s[0:1], vcc
	s_cbranch_execz .LBB31_12
; %bb.9:
	v_lshl_add_u32 v10, v8, 2, v2
	v_lshl_add_u32 v11, v5, 2, v10
	s_mov_b64 s[2:3], 0
.LBB31_10:                              ; =>This Inner Loop Header: Depth=1
	v_sub_u32_e32 v12, v9, v6
	v_lshrrev_b32_e32 v12, 1, v12
	v_add_u32_e32 v12, v12, v6
	v_not_b32_e32 v14, v12
	v_lshl_add_u32 v13, v12, 2, v10
	v_lshl_add_u32 v14, v14, 2, v11
	ds_read_b32 v13, v13
	ds_read_b32 v14, v14 offset:16
	v_add_u32_e32 v15, 1, v12
	s_waitcnt lgkmcnt(0)
	v_cmp_lt_f32_e32 vcc, v14, v13
	v_cndmask_b32_e32 v9, v9, v12, vcc
	v_cndmask_b32_e32 v6, v15, v6, vcc
	v_cmp_ge_i32_e32 vcc, v6, v9
	s_or_b64 s[2:3], vcc, s[2:3]
	s_andn2_b64 exec, exec, s[2:3]
	s_cbranch_execnz .LBB31_10
; %bb.11:
	s_or_b64 exec, exec, s[2:3]
.LBB31_12:
	s_or_b64 exec, exec, s[0:1]
	v_add_u32_e32 v9, 8, v8
	v_lshlrev_b32_e32 v11, 2, v8
	v_add_u32_e32 v8, v8, v5
	v_lshlrev_b32_e32 v10, 2, v6
	v_sub_u32_e32 v8, v8, v6
	v_add3_u32 v10, v2, v10, v11
	v_lshl_add_u32 v8, v8, 2, v2
	ds_read_b32 v10, v10
	ds_read_b32 v8, v8 offset:16
	v_add_u32_e32 v5, v7, v5
	v_sub_u32_e32 v5, v5, v6
	v_cmp_lt_i32_e64 s[0:1], 3, v6
	v_cmp_gt_i32_e32 vcc, v9, v5
	s_waitcnt lgkmcnt(0)
	v_cmp_lt_f32_e64 s[2:3], v8, v10
	s_or_b64 s[0:1], s[0:1], s[2:3]
	s_and_b64 vcc, vcc, s[0:1]
	v_cndmask_b32_e32 v5, v10, v8, vcc
	; wave barrier
	ds_write_b32 v4, v5
	v_sub_u32_e64 v5, v3, 8 clamp
	v_min_u32_e32 v6, 8, v3
	v_cmp_lt_u32_e32 vcc, v5, v6
	; wave barrier
	s_and_saveexec_b64 s[0:1], vcc
	s_cbranch_execz .LBB31_16
; %bb.13:
	s_mov_b64 s[2:3], 0
.LBB31_14:                              ; =>This Inner Loop Header: Depth=1
	v_sub_u32_e32 v7, v6, v5
	v_lshrrev_b32_e32 v7, 1, v7
	v_add_u32_e32 v7, v7, v5
	v_not_b32_e32 v9, v7
	v_lshl_add_u32 v8, v7, 2, v2
	v_lshl_add_u32 v9, v9, 2, v4
	ds_read_b32 v8, v8
	ds_read_b32 v9, v9 offset:32
	v_add_u32_e32 v10, 1, v7
	s_waitcnt lgkmcnt(0)
	v_cmp_lt_f32_e32 vcc, v9, v8
	v_cndmask_b32_e32 v6, v6, v7, vcc
	v_cndmask_b32_e32 v5, v10, v5, vcc
	v_cmp_ge_i32_e32 vcc, v5, v6
	s_or_b64 s[2:3], vcc, s[2:3]
	s_andn2_b64 exec, exec, s[2:3]
	s_cbranch_execnz .LBB31_14
; %bb.15:
	s_or_b64 exec, exec, s[2:3]
.LBB31_16:
	s_or_b64 exec, exec, s[0:1]
	v_sub_u32_e32 v3, v3, v5
	v_lshl_add_u32 v4, v5, 2, v2
	v_lshl_add_u32 v2, v3, 2, v2
	ds_read_b32 v4, v4
	ds_read_b32 v2, v2 offset:32
	v_add_u32_e32 v3, 8, v3
	v_cmp_lt_i32_e64 s[0:1], 7, v5
	v_cmp_gt_i32_e32 vcc, 16, v3
	s_waitcnt lgkmcnt(0)
	v_cmp_lt_f32_e64 s[2:3], v2, v4
	s_or_b64 s[0:1], s[0:1], s[2:3]
	s_and_b64 vcc, vcc, s[0:1]
	v_cndmask_b32_e32 v2, v4, v2, vcc
	global_store_dword v[0:1], v2, off
	s_endpgm
	.section	.rodata,"a",@progbits
	.p2align	6, 0x0
	.amdhsa_kernel _Z14sort_keys_fullILj64ELj16ELj1ELb0EfN10test_utils4lessEEvPT3_T4_
		.amdhsa_group_segment_fixed_size 272
		.amdhsa_private_segment_fixed_size 0
		.amdhsa_kernarg_size 12
		.amdhsa_user_sgpr_count 6
		.amdhsa_user_sgpr_private_segment_buffer 1
		.amdhsa_user_sgpr_dispatch_ptr 0
		.amdhsa_user_sgpr_queue_ptr 0
		.amdhsa_user_sgpr_kernarg_segment_ptr 1
		.amdhsa_user_sgpr_dispatch_id 0
		.amdhsa_user_sgpr_flat_scratch_init 0
		.amdhsa_user_sgpr_private_segment_size 0
		.amdhsa_uses_dynamic_stack 0
		.amdhsa_system_sgpr_private_segment_wavefront_offset 0
		.amdhsa_system_sgpr_workgroup_id_x 1
		.amdhsa_system_sgpr_workgroup_id_y 0
		.amdhsa_system_sgpr_workgroup_id_z 0
		.amdhsa_system_sgpr_workgroup_info 0
		.amdhsa_system_vgpr_workitem_id 0
		.amdhsa_next_free_vgpr 17
		.amdhsa_next_free_sgpr 7
		.amdhsa_reserve_vcc 1
		.amdhsa_reserve_flat_scratch 0
		.amdhsa_float_round_mode_32 0
		.amdhsa_float_round_mode_16_64 0
		.amdhsa_float_denorm_mode_32 3
		.amdhsa_float_denorm_mode_16_64 3
		.amdhsa_dx10_clamp 1
		.amdhsa_ieee_mode 1
		.amdhsa_fp16_overflow 0
		.amdhsa_exception_fp_ieee_invalid_op 0
		.amdhsa_exception_fp_denorm_src 0
		.amdhsa_exception_fp_ieee_div_zero 0
		.amdhsa_exception_fp_ieee_overflow 0
		.amdhsa_exception_fp_ieee_underflow 0
		.amdhsa_exception_fp_ieee_inexact 0
		.amdhsa_exception_int_div_zero 0
	.end_amdhsa_kernel
	.section	.text._Z14sort_keys_fullILj64ELj16ELj1ELb0EfN10test_utils4lessEEvPT3_T4_,"axG",@progbits,_Z14sort_keys_fullILj64ELj16ELj1ELb0EfN10test_utils4lessEEvPT3_T4_,comdat
.Lfunc_end31:
	.size	_Z14sort_keys_fullILj64ELj16ELj1ELb0EfN10test_utils4lessEEvPT3_T4_, .Lfunc_end31-_Z14sort_keys_fullILj64ELj16ELj1ELb0EfN10test_utils4lessEEvPT3_T4_
                                        ; -- End function
	.set _Z14sort_keys_fullILj64ELj16ELj1ELb0EfN10test_utils4lessEEvPT3_T4_.num_vgpr, 17
	.set _Z14sort_keys_fullILj64ELj16ELj1ELb0EfN10test_utils4lessEEvPT3_T4_.num_agpr, 0
	.set _Z14sort_keys_fullILj64ELj16ELj1ELb0EfN10test_utils4lessEEvPT3_T4_.numbered_sgpr, 7
	.set _Z14sort_keys_fullILj64ELj16ELj1ELb0EfN10test_utils4lessEEvPT3_T4_.num_named_barrier, 0
	.set _Z14sort_keys_fullILj64ELj16ELj1ELb0EfN10test_utils4lessEEvPT3_T4_.private_seg_size, 0
	.set _Z14sort_keys_fullILj64ELj16ELj1ELb0EfN10test_utils4lessEEvPT3_T4_.uses_vcc, 1
	.set _Z14sort_keys_fullILj64ELj16ELj1ELb0EfN10test_utils4lessEEvPT3_T4_.uses_flat_scratch, 0
	.set _Z14sort_keys_fullILj64ELj16ELj1ELb0EfN10test_utils4lessEEvPT3_T4_.has_dyn_sized_stack, 0
	.set _Z14sort_keys_fullILj64ELj16ELj1ELb0EfN10test_utils4lessEEvPT3_T4_.has_recursion, 0
	.set _Z14sort_keys_fullILj64ELj16ELj1ELb0EfN10test_utils4lessEEvPT3_T4_.has_indirect_call, 0
	.section	.AMDGPU.csdata,"",@progbits
; Kernel info:
; codeLenInByte = 1092
; TotalNumSgprs: 11
; NumVgprs: 17
; ScratchSize: 0
; MemoryBound: 0
; FloatMode: 240
; IeeeMode: 1
; LDSByteSize: 272 bytes/workgroup (compile time only)
; SGPRBlocks: 1
; VGPRBlocks: 4
; NumSGPRsForWavesPerEU: 11
; NumVGPRsForWavesPerEU: 17
; Occupancy: 10
; WaveLimiterHint : 0
; COMPUTE_PGM_RSRC2:SCRATCH_EN: 0
; COMPUTE_PGM_RSRC2:USER_SGPR: 6
; COMPUTE_PGM_RSRC2:TRAP_HANDLER: 0
; COMPUTE_PGM_RSRC2:TGID_X_EN: 1
; COMPUTE_PGM_RSRC2:TGID_Y_EN: 0
; COMPUTE_PGM_RSRC2:TGID_Z_EN: 0
; COMPUTE_PGM_RSRC2:TIDIG_COMP_CNT: 0
	.section	.text._Z14sort_keys_fullILj256ELj2ELj1ELb0EjN10test_utils4lessEEvPT3_T4_,"axG",@progbits,_Z14sort_keys_fullILj256ELj2ELj1ELb0EjN10test_utils4lessEEvPT3_T4_,comdat
	.protected	_Z14sort_keys_fullILj256ELj2ELj1ELb0EjN10test_utils4lessEEvPT3_T4_ ; -- Begin function _Z14sort_keys_fullILj256ELj2ELj1ELb0EjN10test_utils4lessEEvPT3_T4_
	.globl	_Z14sort_keys_fullILj256ELj2ELj1ELb0EjN10test_utils4lessEEvPT3_T4_
	.p2align	8
	.type	_Z14sort_keys_fullILj256ELj2ELj1ELb0EjN10test_utils4lessEEvPT3_T4_,@function
_Z14sort_keys_fullILj256ELj2ELj1ELb0EjN10test_utils4lessEEvPT3_T4_: ; @_Z14sort_keys_fullILj256ELj2ELj1ELb0EjN10test_utils4lessEEvPT3_T4_
; %bb.0:
	s_load_dwordx2 s[0:1], s[4:5], 0x0
	s_lshl_b32 s2, s6, 8
	s_mov_b32 s3, 0
	s_lshl_b64 s[2:3], s[2:3], 2
	v_lshlrev_b32_e32 v1, 2, v0
	s_waitcnt lgkmcnt(0)
	s_add_u32 s0, s0, s2
	s_addc_u32 s1, s1, s3
	global_load_dword v5, v1, s[0:1]
	v_mbcnt_lo_u32_b32 v3, -1, 0
	v_mbcnt_hi_u32_b32 v4, -1, v3
	v_and_b32_e32 v4, 1, v4
	v_lshrrev_b32_e32 v0, 1, v0
	v_lshlrev_b32_e32 v6, 2, v4
	v_mul_u32_u24_e32 v3, 12, v0
	v_mad_u32_u24 v6, v0, 12, v6
	v_mov_b32_e32 v7, s1
	v_add_co_u32_e32 v0, vcc, s0, v1
	v_addc_co_u32_e32 v1, vcc, 0, v7, vcc
	v_mov_b32_e32 v2, 0
	v_cmp_eq_u32_e32 vcc, 1, v4
	; wave barrier
	s_waitcnt vmcnt(0)
	ds_write_b32 v6, v5
	; wave barrier
	s_and_saveexec_b64 s[0:1], vcc
	s_cbranch_execz .LBB32_4
; %bb.1:
	v_mov_b32_e32 v5, 1
	v_mov_b32_e32 v2, 0
	s_mov_b64 s[2:3], 0
.LBB32_2:                               ; =>This Inner Loop Header: Depth=1
	v_sub_u32_e32 v6, v5, v2
	v_lshrrev_b32_e32 v6, 1, v6
	v_add_u32_e32 v6, v6, v2
	v_lshlrev_b32_e32 v7, 2, v6
	v_add_u32_e32 v8, v3, v7
	v_sub_u32_e32 v7, v3, v7
	ds_read_b32 v8, v8
	ds_read_b32 v7, v7 offset:4
	v_add_u32_e32 v9, 1, v6
	s_waitcnt lgkmcnt(0)
	v_cmp_lt_u32_e32 vcc, v7, v8
	v_cndmask_b32_e32 v5, v5, v6, vcc
	v_cndmask_b32_e32 v2, v9, v2, vcc
	v_cmp_ge_i32_e32 vcc, v2, v5
	s_or_b64 s[2:3], vcc, s[2:3]
	s_andn2_b64 exec, exec, s[2:3]
	s_cbranch_execnz .LBB32_2
; %bb.3:
	s_or_b64 exec, exec, s[2:3]
.LBB32_4:
	s_or_b64 exec, exec, s[0:1]
	v_sub_u32_e32 v4, v4, v2
	v_lshl_add_u32 v5, v2, 2, v3
	v_lshl_add_u32 v3, v4, 2, v3
	ds_read_b32 v5, v5
	ds_read_b32 v3, v3 offset:4
	v_add_u32_e32 v4, 1, v4
	v_cmp_lt_i32_e64 s[0:1], 0, v2
	v_cmp_gt_i32_e32 vcc, 2, v4
	s_waitcnt lgkmcnt(0)
	v_cmp_lt_u32_e64 s[2:3], v3, v5
	s_or_b64 s[0:1], s[0:1], s[2:3]
	s_and_b64 vcc, vcc, s[0:1]
	v_cndmask_b32_e32 v2, v5, v3, vcc
	global_store_dword v[0:1], v2, off
	s_endpgm
	.section	.rodata,"a",@progbits
	.p2align	6, 0x0
	.amdhsa_kernel _Z14sort_keys_fullILj256ELj2ELj1ELb0EjN10test_utils4lessEEvPT3_T4_
		.amdhsa_group_segment_fixed_size 1536
		.amdhsa_private_segment_fixed_size 0
		.amdhsa_kernarg_size 12
		.amdhsa_user_sgpr_count 6
		.amdhsa_user_sgpr_private_segment_buffer 1
		.amdhsa_user_sgpr_dispatch_ptr 0
		.amdhsa_user_sgpr_queue_ptr 0
		.amdhsa_user_sgpr_kernarg_segment_ptr 1
		.amdhsa_user_sgpr_dispatch_id 0
		.amdhsa_user_sgpr_flat_scratch_init 0
		.amdhsa_user_sgpr_private_segment_size 0
		.amdhsa_uses_dynamic_stack 0
		.amdhsa_system_sgpr_private_segment_wavefront_offset 0
		.amdhsa_system_sgpr_workgroup_id_x 1
		.amdhsa_system_sgpr_workgroup_id_y 0
		.amdhsa_system_sgpr_workgroup_id_z 0
		.amdhsa_system_sgpr_workgroup_info 0
		.amdhsa_system_vgpr_workitem_id 0
		.amdhsa_next_free_vgpr 10
		.amdhsa_next_free_sgpr 7
		.amdhsa_reserve_vcc 1
		.amdhsa_reserve_flat_scratch 0
		.amdhsa_float_round_mode_32 0
		.amdhsa_float_round_mode_16_64 0
		.amdhsa_float_denorm_mode_32 3
		.amdhsa_float_denorm_mode_16_64 3
		.amdhsa_dx10_clamp 1
		.amdhsa_ieee_mode 1
		.amdhsa_fp16_overflow 0
		.amdhsa_exception_fp_ieee_invalid_op 0
		.amdhsa_exception_fp_denorm_src 0
		.amdhsa_exception_fp_ieee_div_zero 0
		.amdhsa_exception_fp_ieee_overflow 0
		.amdhsa_exception_fp_ieee_underflow 0
		.amdhsa_exception_fp_ieee_inexact 0
		.amdhsa_exception_int_div_zero 0
	.end_amdhsa_kernel
	.section	.text._Z14sort_keys_fullILj256ELj2ELj1ELb0EjN10test_utils4lessEEvPT3_T4_,"axG",@progbits,_Z14sort_keys_fullILj256ELj2ELj1ELb0EjN10test_utils4lessEEvPT3_T4_,comdat
.Lfunc_end32:
	.size	_Z14sort_keys_fullILj256ELj2ELj1ELb0EjN10test_utils4lessEEvPT3_T4_, .Lfunc_end32-_Z14sort_keys_fullILj256ELj2ELj1ELb0EjN10test_utils4lessEEvPT3_T4_
                                        ; -- End function
	.set _Z14sort_keys_fullILj256ELj2ELj1ELb0EjN10test_utils4lessEEvPT3_T4_.num_vgpr, 10
	.set _Z14sort_keys_fullILj256ELj2ELj1ELb0EjN10test_utils4lessEEvPT3_T4_.num_agpr, 0
	.set _Z14sort_keys_fullILj256ELj2ELj1ELb0EjN10test_utils4lessEEvPT3_T4_.numbered_sgpr, 7
	.set _Z14sort_keys_fullILj256ELj2ELj1ELb0EjN10test_utils4lessEEvPT3_T4_.num_named_barrier, 0
	.set _Z14sort_keys_fullILj256ELj2ELj1ELb0EjN10test_utils4lessEEvPT3_T4_.private_seg_size, 0
	.set _Z14sort_keys_fullILj256ELj2ELj1ELb0EjN10test_utils4lessEEvPT3_T4_.uses_vcc, 1
	.set _Z14sort_keys_fullILj256ELj2ELj1ELb0EjN10test_utils4lessEEvPT3_T4_.uses_flat_scratch, 0
	.set _Z14sort_keys_fullILj256ELj2ELj1ELb0EjN10test_utils4lessEEvPT3_T4_.has_dyn_sized_stack, 0
	.set _Z14sort_keys_fullILj256ELj2ELj1ELb0EjN10test_utils4lessEEvPT3_T4_.has_recursion, 0
	.set _Z14sort_keys_fullILj256ELj2ELj1ELb0EjN10test_utils4lessEEvPT3_T4_.has_indirect_call, 0
	.section	.AMDGPU.csdata,"",@progbits
; Kernel info:
; codeLenInByte = 308
; TotalNumSgprs: 11
; NumVgprs: 10
; ScratchSize: 0
; MemoryBound: 0
; FloatMode: 240
; IeeeMode: 1
; LDSByteSize: 1536 bytes/workgroup (compile time only)
; SGPRBlocks: 1
; VGPRBlocks: 2
; NumSGPRsForWavesPerEU: 11
; NumVGPRsForWavesPerEU: 10
; Occupancy: 10
; WaveLimiterHint : 0
; COMPUTE_PGM_RSRC2:SCRATCH_EN: 0
; COMPUTE_PGM_RSRC2:USER_SGPR: 6
; COMPUTE_PGM_RSRC2:TRAP_HANDLER: 0
; COMPUTE_PGM_RSRC2:TGID_X_EN: 1
; COMPUTE_PGM_RSRC2:TGID_Y_EN: 0
; COMPUTE_PGM_RSRC2:TGID_Z_EN: 0
; COMPUTE_PGM_RSRC2:TIDIG_COMP_CNT: 0
	.section	.text._Z21sort_keys_values_fullILj256ELj32ELj7ELb0EiN10test_utils16custom_test_typeIsEENS0_7greaterEEvPT3_PT4_T5_,"axG",@progbits,_Z21sort_keys_values_fullILj256ELj32ELj7ELb0EiN10test_utils16custom_test_typeIsEENS0_7greaterEEvPT3_PT4_T5_,comdat
	.protected	_Z21sort_keys_values_fullILj256ELj32ELj7ELb0EiN10test_utils16custom_test_typeIsEENS0_7greaterEEvPT3_PT4_T5_ ; -- Begin function _Z21sort_keys_values_fullILj256ELj32ELj7ELb0EiN10test_utils16custom_test_typeIsEENS0_7greaterEEvPT3_PT4_T5_
	.globl	_Z21sort_keys_values_fullILj256ELj32ELj7ELb0EiN10test_utils16custom_test_typeIsEENS0_7greaterEEvPT3_PT4_T5_
	.p2align	8
	.type	_Z21sort_keys_values_fullILj256ELj32ELj7ELb0EiN10test_utils16custom_test_typeIsEENS0_7greaterEEvPT3_PT4_T5_,@function
_Z21sort_keys_values_fullILj256ELj32ELj7ELb0EiN10test_utils16custom_test_typeIsEENS0_7greaterEEvPT3_PT4_T5_: ; @_Z21sort_keys_values_fullILj256ELj32ELj7ELb0EiN10test_utils16custom_test_typeIsEENS0_7greaterEEvPT3_PT4_T5_
; %bb.0:
	s_load_dwordx4 s[0:3], s[4:5], 0x0
	s_mul_i32 s4, s6, 0x700
	s_mov_b32 s5, 0
	s_lshl_b64 s[4:5], s[4:5], 2
	v_mul_u32_u24_e32 v1, 7, v0
	s_waitcnt lgkmcnt(0)
	s_add_u32 s18, s0, s4
	s_addc_u32 s19, s1, s5
	v_lshlrev_b32_e32 v1, 2, v1
	global_load_dwordx4 v[3:6], v1, s[18:19]
	s_add_u32 s20, s2, s4
	s_addc_u32 s21, s3, s5
	global_load_dwordx4 v[8:11], v1, s[20:21]
	global_load_dword v7, v1, s[20:21]
	global_load_dwordx3 v[12:14], v1, s[18:19] offset:16
	global_load_dwordx3 v[15:17], v1, s[20:21] offset:16
	global_load_dword v8, v1, s[20:21] offset:16
	v_mov_b32_e32 v21, 0
	v_mov_b32_e32 v2, s19
	s_waitcnt vmcnt(5)
	v_cmp_gt_i32_e32 vcc, v4, v3
	s_waitcnt vmcnt(1)
	v_cndmask_b32_e32 v15, v9, v7, vcc
	v_cndmask_b32_e32 v9, v7, v9, vcc
	;; [unrolled: 1-line block ×4, first 2 shown]
	v_cmp_gt_i32_e32 vcc, v6, v5
	v_cndmask_b32_e32 v4, v11, v10, vcc
	v_cndmask_b32_e32 v10, v10, v11, vcc
	;; [unrolled: 1-line block ×4, first 2 shown]
	v_cmp_gt_i32_e32 vcc, v13, v12
	s_waitcnt vmcnt(0)
	v_cndmask_b32_e32 v6, v16, v8, vcc
	v_cndmask_b32_e32 v8, v8, v16, vcc
	;; [unrolled: 1-line block ×4, first 2 shown]
	v_cmp_gt_i32_e32 vcc, v5, v3
	v_cmp_gt_i32_e64 s[0:1], v12, v11
	v_cmp_gt_i32_e64 s[2:3], v14, v16
	v_cndmask_b32_e32 v13, v10, v15, vcc
	v_cndmask_b32_e64 v18, v8, v4, s[0:1]
	v_cndmask_b32_e64 v19, v17, v6, s[2:3]
	v_cndmask_b32_e32 v10, v15, v10, vcc
	v_cndmask_b32_e32 v15, v5, v3, vcc
	;; [unrolled: 1-line block ×3, first 2 shown]
	v_cndmask_b32_e64 v4, v4, v8, s[0:1]
	v_cndmask_b32_e64 v5, v12, v11, s[0:1]
	v_cndmask_b32_e64 v8, v11, v12, s[0:1]
	v_cndmask_b32_e64 v6, v6, v17, s[2:3]
	v_cndmask_b32_e64 v17, v14, v16, s[2:3]
	v_cndmask_b32_e64 v14, v16, v14, s[2:3]
	v_cmp_gt_i32_e32 vcc, v3, v7
	v_cmp_gt_i32_e64 s[0:1], v8, v15
	v_cmp_gt_i32_e64 s[2:3], v14, v5
	v_cndmask_b32_e64 v16, v4, v13, s[0:1]
	v_cndmask_b32_e32 v22, v7, v3, vcc
	v_cndmask_b32_e32 v3, v3, v7, vcc
	v_cndmask_b32_e64 v12, v13, v4, s[0:1]
	v_cndmask_b32_e64 v4, v8, v15, s[0:1]
	;; [unrolled: 1-line block ×7, first 2 shown]
	v_cmp_gt_i32_e64 s[0:1], v7, v3
	v_cmp_gt_i32_e64 s[2:3], v5, v4
	;; [unrolled: 1-line block ×3, first 2 shown]
	v_cndmask_b32_e64 v23, v6, v16, s[2:3]
	v_cndmask_b32_e64 v24, v7, v3, s[0:1]
	;; [unrolled: 1-line block ×10, first 2 shown]
	v_cmp_gt_i32_e64 s[2:3], v3, v22
	v_cmp_gt_i32_e64 s[4:5], v4, v24
	;; [unrolled: 1-line block ×3, first 2 shown]
	v_cndmask_b32_e64 v20, v22, v3, s[2:3]
	v_cndmask_b32_e64 v18, v5, v23, s[6:7]
	;; [unrolled: 1-line block ×8, first 2 shown]
	v_cndmask_b32_e32 v11, v10, v9, vcc
	v_cmp_gt_i32_e64 s[6:7], v4, v22
	v_cmp_gt_i32_e64 s[8:9], v6, v25
	v_cndmask_b32_e64 v13, v12, v11, s[0:1]
	v_cndmask_b32_e64 v8, v4, v22, s[6:7]
	v_cmp_gt_i32_e64 s[10:11], v7, v5
	v_cndmask_b32_e64 v4, v22, v4, s[6:7]
	v_cndmask_b32_e64 v22, v6, v25, s[8:9]
	;; [unrolled: 1-line block ×7, first 2 shown]
	v_cmp_gt_i32_e64 s[12:13], v4, v20
	v_cmp_gt_i32_e64 s[14:15], v6, v8
	v_cndmask_b32_e64 v16, v19, v17, s[8:9]
	v_cndmask_b32_e64 v24, v4, v20, s[12:13]
	;; [unrolled: 1-line block ×5, first 2 shown]
	v_mov_b32_e32 v4, s21
	v_cmp_gt_i32_e64 s[16:17], v5, v22
	v_mov_b32_e32 v28, v5
	v_mov_b32_e32 v20, v3
	s_and_saveexec_b64 s[22:23], s[16:17]
; %bb.1:
	v_mov_b32_e32 v28, v22
	v_mov_b32_e32 v22, v5
	;; [unrolled: 1-line block ×4, first 2 shown]
; %bb.2:
	s_or_b64 exec, exec, s[22:23]
	v_add_co_u32_e64 v5, s[16:17], s18, v1
	v_lshrrev_b32_e32 v8, 5, v0
	v_mbcnt_lo_u32_b32 v0, -1, 0
	v_addc_co_u32_e64 v6, s[16:17], 0, v2, s[16:17]
	v_mbcnt_hi_u32_b32 v2, -1, v0
	v_add_co_u32_e64 v3, s[16:17], s20, v1
	v_and_b32_e32 v1, 31, v2
	v_mul_u32_u24_e32 v0, 7, v1
	s_movk_i32 s18, 0x384
	v_lshlrev_b32_e32 v7, 2, v0
	v_mad_u32_u24 v7, v8, s18, v7
	; wave barrier
	ds_write2_b32 v7, v25, v24 offset1:1
	ds_write2_b32 v7, v27, v26 offset0:2 offset1:3
	ds_write2_b32 v7, v22, v28 offset0:4 offset1:5
	ds_write_b32 v7, v23 offset:24
	v_and_b32_e32 v22, 30, v2
	v_addc_co_u32_e64 v4, s[16:17], 0, v4, s[16:17]
	v_mul_u32_u24_e32 v29, 7, v22
	v_and_b32_e32 v22, 1, v2
	v_cmp_eq_u32_e64 s[16:17], 1, v22
	v_lshlrev_b32_e32 v22, 2, v29
	v_mad_u32_u24 v24, v8, s18, v22
	; wave barrier
	s_and_saveexec_b64 s[20:21], s[16:17]
	s_cbranch_execz .LBB33_6
; %bb.3:
	v_mov_b32_e32 v22, 7
	v_mov_b32_e32 v21, 0
	s_mov_b64 s[22:23], 0
.LBB33_4:                               ; =>This Inner Loop Header: Depth=1
	v_sub_u32_e32 v23, v22, v21
	v_lshrrev_b32_e32 v23, 1, v23
	v_add_u32_e32 v23, v23, v21
	v_lshlrev_b32_e32 v25, 2, v23
	v_add_u32_e32 v26, v24, v25
	v_sub_u32_e32 v25, v24, v25
	ds_read_b32 v26, v26
	ds_read_b32 v25, v25 offset:52
	v_add_u32_e32 v27, 1, v23
	s_waitcnt lgkmcnt(0)
	v_cmp_gt_i32_e64 s[18:19], v25, v26
	v_cndmask_b32_e64 v22, v22, v23, s[18:19]
	v_cndmask_b32_e64 v21, v27, v21, s[18:19]
	v_cmp_ge_i32_e64 s[18:19], v21, v22
	s_or_b64 s[22:23], s[18:19], s[22:23]
	s_andn2_b64 exec, exec, s[22:23]
	s_cbranch_execnz .LBB33_4
; %bb.5:
	s_or_b64 exec, exec, s[22:23]
.LBB33_6:
	s_or_b64 exec, exec, s[20:21]
	v_cndmask_b32_e64 v26, 0, 7, s[16:17]
	v_lshl_add_u32 v28, v21, 2, v24
	v_add_u32_e32 v24, v29, v26
	v_mul_u32_u24_e32 v8, 0x384, v8
	v_sub_u32_e32 v24, v24, v21
	v_lshl_add_u32 v30, v24, 2, v8
	ds_read_b32 v24, v28
	ds_read_b32 v25, v30 offset:28
	v_add_u32_e32 v22, 7, v29
	v_add_u32_e32 v26, v22, v26
	;; [unrolled: 1-line block ×3, first 2 shown]
	v_sub_u32_e32 v26, v26, v21
	v_cmp_lt_i32_e64 s[18:19], 6, v21
	s_waitcnt lgkmcnt(0)
	v_cmp_gt_i32_e64 s[20:21], v25, v24
	v_cmp_gt_i32_e64 s[16:17], v23, v26
	s_or_b64 s[18:19], s[18:19], s[20:21]
	s_and_b64 s[16:17], s[16:17], s[18:19]
	s_xor_b64 s[18:19], s[16:17], -1
                                        ; implicit-def: $vgpr27
	s_and_saveexec_b64 s[20:21], s[18:19]
	s_xor_b64 s[18:19], exec, s[20:21]
; %bb.7:
	ds_read_b32 v27, v28 offset:4
                                        ; implicit-def: $vgpr30
; %bb.8:
	s_or_saveexec_b64 s[18:19], s[18:19]
	v_mov_b32_e32 v28, v25
	s_xor_b64 exec, exec, s[18:19]
	s_cbranch_execz .LBB33_10
; %bb.9:
	ds_read_b32 v28, v30 offset:32
	s_waitcnt lgkmcnt(1)
	v_mov_b32_e32 v27, v24
.LBB33_10:
	s_or_b64 exec, exec, s[18:19]
	v_add_u32_e32 v21, v21, v29
	v_add_u32_e32 v30, 1, v21
	;; [unrolled: 1-line block ×3, first 2 shown]
	v_cndmask_b32_e64 v30, v30, v21, s[16:17]
	v_cndmask_b32_e64 v29, v26, v29, s[16:17]
	v_cmp_ge_i32_e64 s[20:21], v30, v22
	s_waitcnt lgkmcnt(0)
	v_cmp_gt_i32_e64 s[22:23], v28, v27
	v_cmp_lt_i32_e64 s[18:19], v29, v23
	s_or_b64 s[20:21], s[20:21], s[22:23]
	s_and_b64 s[18:19], s[18:19], s[20:21]
	s_xor_b64 s[20:21], s[18:19], -1
                                        ; implicit-def: $vgpr31
	s_and_saveexec_b64 s[22:23], s[20:21]
	s_xor_b64 s[20:21], exec, s[22:23]
; %bb.11:
	v_lshl_add_u32 v31, v30, 2, v8
	ds_read_b32 v31, v31 offset:4
; %bb.12:
	s_or_saveexec_b64 s[20:21], s[20:21]
	v_mov_b32_e32 v32, v28
	s_xor_b64 exec, exec, s[20:21]
	s_cbranch_execz .LBB33_14
; %bb.13:
	s_waitcnt lgkmcnt(0)
	v_lshl_add_u32 v31, v29, 2, v8
	ds_read_b32 v32, v31 offset:4
	v_mov_b32_e32 v31, v27
.LBB33_14:
	s_or_b64 exec, exec, s[20:21]
	v_add_u32_e32 v34, 1, v30
	v_add_u32_e32 v33, 1, v29
	v_cndmask_b32_e64 v34, v34, v30, s[18:19]
	v_cndmask_b32_e64 v33, v29, v33, s[18:19]
	v_cmp_ge_i32_e64 s[22:23], v34, v22
	s_waitcnt lgkmcnt(0)
	v_cmp_gt_i32_e64 s[24:25], v32, v31
	v_cmp_lt_i32_e64 s[20:21], v33, v23
	s_or_b64 s[22:23], s[22:23], s[24:25]
	s_and_b64 s[20:21], s[20:21], s[22:23]
	s_xor_b64 s[22:23], s[20:21], -1
                                        ; implicit-def: $vgpr35
	s_and_saveexec_b64 s[24:25], s[22:23]
	s_xor_b64 s[22:23], exec, s[24:25]
; %bb.15:
	v_lshl_add_u32 v35, v34, 2, v8
	ds_read_b32 v35, v35 offset:4
; %bb.16:
	s_or_saveexec_b64 s[22:23], s[22:23]
	v_mov_b32_e32 v36, v32
	s_xor_b64 exec, exec, s[22:23]
	s_cbranch_execz .LBB33_18
; %bb.17:
	s_waitcnt lgkmcnt(0)
	v_lshl_add_u32 v35, v33, 2, v8
	ds_read_b32 v36, v35 offset:4
	v_mov_b32_e32 v35, v31
.LBB33_18:
	s_or_b64 exec, exec, s[22:23]
	v_add_u32_e32 v38, 1, v34
	v_add_u32_e32 v37, 1, v33
	v_cndmask_b32_e64 v38, v38, v34, s[20:21]
	v_cndmask_b32_e64 v37, v33, v37, s[20:21]
	v_cmp_ge_i32_e64 s[24:25], v38, v22
	s_waitcnt lgkmcnt(0)
	v_cmp_gt_i32_e64 s[26:27], v36, v35
	v_cmp_lt_i32_e64 s[22:23], v37, v23
	s_or_b64 s[24:25], s[24:25], s[26:27]
	s_and_b64 s[22:23], s[22:23], s[24:25]
	s_xor_b64 s[24:25], s[22:23], -1
                                        ; implicit-def: $vgpr39
	s_and_saveexec_b64 s[26:27], s[24:25]
	s_xor_b64 s[24:25], exec, s[26:27]
; %bb.19:
	v_lshl_add_u32 v39, v38, 2, v8
	ds_read_b32 v39, v39 offset:4
; %bb.20:
	s_or_saveexec_b64 s[24:25], s[24:25]
	v_mov_b32_e32 v40, v36
	s_xor_b64 exec, exec, s[24:25]
	s_cbranch_execz .LBB33_22
; %bb.21:
	s_waitcnt lgkmcnt(0)
	v_lshl_add_u32 v39, v37, 2, v8
	ds_read_b32 v40, v39 offset:4
	v_mov_b32_e32 v39, v35
.LBB33_22:
	s_or_b64 exec, exec, s[24:25]
	v_add_u32_e32 v42, 1, v38
	v_add_u32_e32 v41, 1, v37
	v_cndmask_b32_e64 v42, v42, v38, s[22:23]
	v_cndmask_b32_e64 v41, v37, v41, s[22:23]
	v_cmp_ge_i32_e64 s[26:27], v42, v22
	s_waitcnt lgkmcnt(0)
	v_cmp_gt_i32_e64 s[28:29], v40, v39
	v_cmp_lt_i32_e64 s[24:25], v41, v23
	s_or_b64 s[26:27], s[26:27], s[28:29]
	s_and_b64 s[24:25], s[24:25], s[26:27]
	s_xor_b64 s[26:27], s[24:25], -1
                                        ; implicit-def: $vgpr43
	s_and_saveexec_b64 s[28:29], s[26:27]
	s_xor_b64 s[26:27], exec, s[28:29]
; %bb.23:
	v_lshl_add_u32 v43, v42, 2, v8
	ds_read_b32 v43, v43 offset:4
; %bb.24:
	s_or_saveexec_b64 s[26:27], s[26:27]
	v_mov_b32_e32 v45, v40
	s_xor_b64 exec, exec, s[26:27]
	s_cbranch_execz .LBB33_26
; %bb.25:
	s_waitcnt lgkmcnt(0)
	v_lshl_add_u32 v43, v41, 2, v8
	ds_read_b32 v45, v43 offset:4
	v_mov_b32_e32 v43, v39
.LBB33_26:
	s_or_b64 exec, exec, s[26:27]
	v_add_u32_e32 v46, 1, v42
	v_add_u32_e32 v44, 1, v41
	v_cndmask_b32_e64 v48, v46, v42, s[24:25]
	v_cndmask_b32_e64 v47, v41, v44, s[24:25]
	v_cmp_ge_i32_e64 s[28:29], v48, v22
	s_waitcnt lgkmcnt(0)
	v_cmp_gt_i32_e64 s[30:31], v45, v43
	v_cmp_lt_i32_e64 s[26:27], v47, v23
	s_or_b64 s[28:29], s[28:29], s[30:31]
	s_and_b64 s[26:27], s[26:27], s[28:29]
	s_xor_b64 s[28:29], s[26:27], -1
                                        ; implicit-def: $vgpr44
	s_and_saveexec_b64 s[30:31], s[28:29]
	s_xor_b64 s[28:29], exec, s[30:31]
; %bb.27:
	v_lshl_add_u32 v44, v48, 2, v8
	ds_read_b32 v44, v44 offset:4
; %bb.28:
	s_or_saveexec_b64 s[28:29], s[28:29]
	v_mov_b32_e32 v46, v45
	s_xor_b64 exec, exec, s[28:29]
	s_cbranch_execz .LBB33_30
; %bb.29:
	s_waitcnt lgkmcnt(0)
	v_lshl_add_u32 v44, v47, 2, v8
	ds_read_b32 v46, v44 offset:4
	v_mov_b32_e32 v44, v43
.LBB33_30:
	s_or_b64 exec, exec, s[28:29]
	v_add_u32_e32 v49, 1, v48
	v_cndmask_b32_e64 v43, v43, v45, s[26:27]
	v_add_u32_e32 v45, 1, v47
	v_cndmask_b32_e64 v49, v49, v48, s[26:27]
	v_cndmask_b32_e32 v9, v9, v10, vcc
	v_cndmask_b32_e64 v10, v11, v12, s[0:1]
	v_cndmask_b32_e64 v45, v47, v45, s[26:27]
	;; [unrolled: 1-line block ×5, first 2 shown]
	v_cmp_ge_i32_e64 s[0:1], v49, v22
	s_waitcnt lgkmcnt(0)
	v_cmp_gt_i32_e64 s[2:3], v46, v44
	v_cndmask_b32_e64 v12, v10, v11, s[6:7]
	v_cndmask_b32_e64 v10, v11, v10, s[6:7]
	;; [unrolled: 1-line block ×3, first 2 shown]
	v_cmp_lt_i32_e32 vcc, v45, v23
	s_or_b64 s[0:1], s[0:1], s[2:3]
	v_cndmask_b32_e64 v47, v48, v47, s[26:27]
	v_cndmask_b32_e64 v39, v39, v40, s[24:25]
	;; [unrolled: 1-line block ×15, first 2 shown]
	s_and_b64 vcc, vcc, s[0:1]
	v_cndmask_b32_e32 v12, v49, v45, vcc
	; wave barrier
	ds_write2_b32 v7, v9, v14 offset1:1
	ds_write2_b32 v7, v11, v10 offset0:2 offset1:3
	ds_write2_b32 v7, v16, v20 offset0:4 offset1:5
	ds_write_b32 v7, v13 offset:24
	v_lshl_add_u32 v9, v21, 2, v8
	v_lshl_add_u32 v10, v28, 2, v8
	;; [unrolled: 1-line block ×6, first 2 shown]
	; wave barrier
	v_lshl_add_u32 v16, v12, 2, v8
	ds_read_b32 v9, v9
	ds_read_b32 v10, v10
	;; [unrolled: 1-line block ×7, first 2 shown]
	v_and_b32_e32 v16, 28, v2
	v_cndmask_b32_e64 v24, v24, v25, s[16:17]
	v_cndmask_b32_e32 v17, v44, v46, vcc
	v_mul_u32_u24_e32 v23, 7, v16
	v_and_b32_e32 v16, 3, v2
	; wave barrier
	ds_write2_b32 v7, v24, v27 offset1:1
	ds_write2_b32 v7, v31, v35 offset0:2 offset1:3
	ds_write2_b32 v7, v39, v43 offset0:4 offset1:5
	ds_write_b32 v7, v17 offset:24
	v_mul_u32_u24_e32 v20, 7, v16
	v_mad_u32_u24 v17, v16, 7, -14
	v_cmp_lt_u32_e32 vcc, 1, v16
	v_cndmask_b32_e32 v24, 0, v17, vcc
	v_min_u32_e32 v16, 14, v20
	v_lshl_add_u32 v18, v23, 2, v8
	v_cmp_lt_i32_e32 vcc, v24, v16
	; wave barrier
	s_and_saveexec_b64 s[0:1], vcc
	s_cbranch_execz .LBB33_34
; %bb.31:
	v_lshl_add_u32 v17, v20, 2, v18
	s_mov_b64 s[2:3], 0
.LBB33_32:                              ; =>This Inner Loop Header: Depth=1
	v_sub_u32_e32 v19, v16, v24
	v_lshrrev_b32_e32 v19, 1, v19
	v_add_u32_e32 v19, v19, v24
	v_not_b32_e32 v22, v19
	v_lshl_add_u32 v21, v19, 2, v18
	v_lshl_add_u32 v22, v22, 2, v17
	ds_read_b32 v21, v21
	ds_read_b32 v22, v22 offset:56
	v_add_u32_e32 v25, 1, v19
	s_waitcnt lgkmcnt(0)
	v_cmp_gt_i32_e32 vcc, v22, v21
	v_cndmask_b32_e32 v16, v16, v19, vcc
	v_cndmask_b32_e32 v24, v25, v24, vcc
	v_cmp_ge_i32_e32 vcc, v24, v16
	s_or_b64 s[2:3], vcc, s[2:3]
	s_andn2_b64 exec, exec, s[2:3]
	s_cbranch_execnz .LBB33_32
; %bb.33:
	s_or_b64 exec, exec, s[2:3]
.LBB33_34:
	s_or_b64 exec, exec, s[0:1]
	v_lshl_add_u32 v22, v24, 2, v18
	v_add_u32_e32 v18, v23, v20
	v_sub_u32_e32 v18, v18, v24
	v_lshl_add_u32 v25, v18, 2, v8
	ds_read_b32 v18, v22
	ds_read_b32 v19, v25 offset:56
	v_add_u32_e32 v16, 14, v23
	v_add_u32_e32 v20, v16, v20
	;; [unrolled: 1-line block ×3, first 2 shown]
	v_sub_u32_e32 v20, v20, v24
	v_cmp_lt_i32_e64 s[0:1], 13, v24
	s_waitcnt lgkmcnt(0)
	v_cmp_gt_i32_e64 s[2:3], v19, v18
	v_cmp_gt_i32_e32 vcc, v17, v20
	s_or_b64 s[0:1], s[0:1], s[2:3]
	s_and_b64 vcc, vcc, s[0:1]
	s_xor_b64 s[0:1], vcc, -1
                                        ; implicit-def: $vgpr21
	s_and_saveexec_b64 s[2:3], s[0:1]
	s_xor_b64 s[0:1], exec, s[2:3]
; %bb.35:
	ds_read_b32 v21, v22 offset:4
                                        ; implicit-def: $vgpr25
; %bb.36:
	s_or_saveexec_b64 s[0:1], s[0:1]
	v_mov_b32_e32 v22, v19
	s_xor_b64 exec, exec, s[0:1]
	s_cbranch_execz .LBB33_38
; %bb.37:
	ds_read_b32 v22, v25 offset:60
	s_waitcnt lgkmcnt(1)
	v_mov_b32_e32 v21, v18
.LBB33_38:
	s_or_b64 exec, exec, s[0:1]
	v_add_u32_e32 v23, v24, v23
	v_add_u32_e32 v25, 1, v23
	;; [unrolled: 1-line block ×3, first 2 shown]
	v_cndmask_b32_e32 v25, v25, v23, vcc
	v_cndmask_b32_e32 v24, v20, v24, vcc
	v_cmp_ge_i32_e64 s[2:3], v25, v16
	s_waitcnt lgkmcnt(0)
	v_cmp_gt_i32_e64 s[4:5], v22, v21
	v_cmp_lt_i32_e64 s[0:1], v24, v17
	s_or_b64 s[2:3], s[2:3], s[4:5]
	s_and_b64 s[0:1], s[0:1], s[2:3]
	s_xor_b64 s[2:3], s[0:1], -1
                                        ; implicit-def: $vgpr26
	s_and_saveexec_b64 s[4:5], s[2:3]
	s_xor_b64 s[2:3], exec, s[4:5]
; %bb.39:
	v_lshl_add_u32 v26, v25, 2, v8
	ds_read_b32 v26, v26 offset:4
; %bb.40:
	s_or_saveexec_b64 s[2:3], s[2:3]
	v_mov_b32_e32 v27, v22
	s_xor_b64 exec, exec, s[2:3]
	s_cbranch_execz .LBB33_42
; %bb.41:
	s_waitcnt lgkmcnt(0)
	v_lshl_add_u32 v26, v24, 2, v8
	ds_read_b32 v27, v26 offset:4
	v_mov_b32_e32 v26, v21
.LBB33_42:
	s_or_b64 exec, exec, s[2:3]
	v_add_u32_e32 v29, 1, v25
	v_add_u32_e32 v28, 1, v24
	v_cndmask_b32_e64 v29, v29, v25, s[0:1]
	v_cndmask_b32_e64 v28, v24, v28, s[0:1]
	v_cmp_ge_i32_e64 s[4:5], v29, v16
	s_waitcnt lgkmcnt(0)
	v_cmp_gt_i32_e64 s[6:7], v27, v26
	v_cmp_lt_i32_e64 s[2:3], v28, v17
	s_or_b64 s[4:5], s[4:5], s[6:7]
	s_and_b64 s[2:3], s[2:3], s[4:5]
	s_xor_b64 s[4:5], s[2:3], -1
                                        ; implicit-def: $vgpr30
	s_and_saveexec_b64 s[6:7], s[4:5]
	s_xor_b64 s[4:5], exec, s[6:7]
; %bb.43:
	v_lshl_add_u32 v30, v29, 2, v8
	ds_read_b32 v30, v30 offset:4
; %bb.44:
	s_or_saveexec_b64 s[4:5], s[4:5]
	v_mov_b32_e32 v31, v27
	s_xor_b64 exec, exec, s[4:5]
	s_cbranch_execz .LBB33_46
; %bb.45:
	s_waitcnt lgkmcnt(0)
	v_lshl_add_u32 v30, v28, 2, v8
	ds_read_b32 v31, v30 offset:4
	v_mov_b32_e32 v30, v26
.LBB33_46:
	s_or_b64 exec, exec, s[4:5]
	v_add_u32_e32 v33, 1, v29
	v_add_u32_e32 v32, 1, v28
	v_cndmask_b32_e64 v33, v33, v29, s[2:3]
	v_cndmask_b32_e64 v32, v28, v32, s[2:3]
	v_cmp_ge_i32_e64 s[6:7], v33, v16
	s_waitcnt lgkmcnt(0)
	v_cmp_gt_i32_e64 s[8:9], v31, v30
	v_cmp_lt_i32_e64 s[4:5], v32, v17
	s_or_b64 s[6:7], s[6:7], s[8:9]
	s_and_b64 s[4:5], s[4:5], s[6:7]
	s_xor_b64 s[6:7], s[4:5], -1
                                        ; implicit-def: $vgpr34
	s_and_saveexec_b64 s[8:9], s[6:7]
	s_xor_b64 s[6:7], exec, s[8:9]
; %bb.47:
	v_lshl_add_u32 v34, v33, 2, v8
	ds_read_b32 v34, v34 offset:4
; %bb.48:
	s_or_saveexec_b64 s[6:7], s[6:7]
	v_mov_b32_e32 v35, v31
	s_xor_b64 exec, exec, s[6:7]
	s_cbranch_execz .LBB33_50
; %bb.49:
	s_waitcnt lgkmcnt(0)
	v_lshl_add_u32 v34, v32, 2, v8
	ds_read_b32 v35, v34 offset:4
	v_mov_b32_e32 v34, v30
.LBB33_50:
	s_or_b64 exec, exec, s[6:7]
	v_add_u32_e32 v37, 1, v33
	v_add_u32_e32 v36, 1, v32
	v_cndmask_b32_e64 v37, v37, v33, s[4:5]
	v_cndmask_b32_e64 v36, v32, v36, s[4:5]
	v_cmp_ge_i32_e64 s[8:9], v37, v16
	s_waitcnt lgkmcnt(0)
	v_cmp_gt_i32_e64 s[10:11], v35, v34
	v_cmp_lt_i32_e64 s[6:7], v36, v17
	s_or_b64 s[8:9], s[8:9], s[10:11]
	s_and_b64 s[6:7], s[6:7], s[8:9]
	s_xor_b64 s[8:9], s[6:7], -1
                                        ; implicit-def: $vgpr38
	s_and_saveexec_b64 s[10:11], s[8:9]
	s_xor_b64 s[8:9], exec, s[10:11]
; %bb.51:
	v_lshl_add_u32 v38, v37, 2, v8
	ds_read_b32 v38, v38 offset:4
; %bb.52:
	s_or_saveexec_b64 s[8:9], s[8:9]
	v_mov_b32_e32 v39, v35
	s_xor_b64 exec, exec, s[8:9]
	s_cbranch_execz .LBB33_54
; %bb.53:
	s_waitcnt lgkmcnt(0)
	v_lshl_add_u32 v38, v36, 2, v8
	ds_read_b32 v39, v38 offset:4
	v_mov_b32_e32 v38, v34
.LBB33_54:
	s_or_b64 exec, exec, s[8:9]
	v_add_u32_e32 v42, 1, v37
	v_add_u32_e32 v40, 1, v36
	v_cndmask_b32_e64 v42, v42, v37, s[6:7]
	v_cndmask_b32_e64 v41, v36, v40, s[6:7]
	v_cmp_ge_i32_e64 s[10:11], v42, v16
	s_waitcnt lgkmcnt(0)
	v_cmp_gt_i32_e64 s[12:13], v39, v38
	v_cmp_lt_i32_e64 s[8:9], v41, v17
	s_or_b64 s[10:11], s[10:11], s[12:13]
	s_and_b64 s[8:9], s[8:9], s[10:11]
	s_xor_b64 s[10:11], s[8:9], -1
                                        ; implicit-def: $vgpr40
	s_and_saveexec_b64 s[12:13], s[10:11]
	s_xor_b64 s[10:11], exec, s[12:13]
; %bb.55:
	v_lshl_add_u32 v40, v42, 2, v8
	ds_read_b32 v40, v40 offset:4
; %bb.56:
	s_or_saveexec_b64 s[10:11], s[10:11]
	v_mov_b32_e32 v43, v39
	s_xor_b64 exec, exec, s[10:11]
	s_cbranch_execz .LBB33_58
; %bb.57:
	s_waitcnt lgkmcnt(0)
	v_lshl_add_u32 v40, v41, 2, v8
	ds_read_b32 v43, v40 offset:4
	v_mov_b32_e32 v40, v38
.LBB33_58:
	s_or_b64 exec, exec, s[10:11]
	v_add_u32_e32 v44, 1, v42
	v_cndmask_b32_e64 v38, v38, v39, s[8:9]
	v_add_u32_e32 v39, 1, v41
	v_cndmask_b32_e64 v44, v44, v42, s[8:9]
	v_cndmask_b32_e64 v39, v41, v39, s[8:9]
	;; [unrolled: 1-line block ×6, first 2 shown]
	v_cmp_ge_i32_e64 s[0:1], v44, v16
	s_waitcnt lgkmcnt(0)
	v_cmp_gt_i32_e64 s[2:3], v43, v40
	v_cndmask_b32_e32 v18, v18, v19, vcc
	v_cndmask_b32_e32 v19, v23, v20, vcc
	v_cmp_lt_i32_e32 vcc, v39, v17
	s_or_b64 s[0:1], s[0:1], s[2:3]
	s_and_b64 vcc, vcc, s[0:1]
	v_cndmask_b32_e64 v41, v42, v41, s[8:9]
	v_cndmask_b32_e64 v34, v34, v35, s[6:7]
	;; [unrolled: 1-line block ×5, first 2 shown]
	v_cndmask_b32_e32 v17, v44, v39, vcc
	; wave barrier
	ds_write2_b32 v7, v9, v10 offset1:1
	ds_write2_b32 v7, v11, v12 offset0:2 offset1:3
	ds_write2_b32 v7, v13, v14 offset0:4 offset1:5
	ds_write_b32 v7, v15 offset:24
	v_lshl_add_u32 v9, v19, 2, v8
	v_lshl_add_u32 v10, v22, 2, v8
	;; [unrolled: 1-line block ×7, first 2 shown]
	; wave barrier
	ds_read_b32 v9, v9
	ds_read_b32 v10, v10
	;; [unrolled: 1-line block ×7, first 2 shown]
	v_cndmask_b32_e32 v16, v40, v43, vcc
	; wave barrier
	ds_write2_b32 v7, v18, v21 offset1:1
	ds_write2_b32 v7, v26, v30 offset0:2 offset1:3
	ds_write2_b32 v7, v34, v38 offset0:4 offset1:5
	ds_write_b32 v7, v16 offset:24
	v_and_b32_e32 v16, 24, v2
	v_mul_u32_u24_e32 v23, 7, v16
	v_and_b32_e32 v16, 7, v2
	v_not_b32_e32 v17, 27
	v_mul_u32_u24_e32 v20, 7, v16
	v_mad_u32_u24 v17, v16, 7, v17
	v_cmp_lt_u32_e32 vcc, 3, v16
	v_cndmask_b32_e32 v24, 0, v17, vcc
	v_min_u32_e32 v16, 28, v20
	v_lshl_add_u32 v18, v23, 2, v8
	v_cmp_lt_i32_e32 vcc, v24, v16
	; wave barrier
	s_and_saveexec_b64 s[0:1], vcc
	s_cbranch_execz .LBB33_62
; %bb.59:
	v_lshl_add_u32 v17, v20, 2, v18
	s_mov_b64 s[2:3], 0
.LBB33_60:                              ; =>This Inner Loop Header: Depth=1
	v_sub_u32_e32 v19, v16, v24
	v_lshrrev_b32_e32 v19, 1, v19
	v_add_u32_e32 v19, v19, v24
	v_not_b32_e32 v22, v19
	v_lshl_add_u32 v21, v19, 2, v18
	v_lshl_add_u32 v22, v22, 2, v17
	ds_read_b32 v21, v21
	ds_read_b32 v22, v22 offset:112
	v_add_u32_e32 v25, 1, v19
	s_waitcnt lgkmcnt(0)
	v_cmp_gt_i32_e32 vcc, v22, v21
	v_cndmask_b32_e32 v16, v16, v19, vcc
	v_cndmask_b32_e32 v24, v25, v24, vcc
	v_cmp_ge_i32_e32 vcc, v24, v16
	s_or_b64 s[2:3], vcc, s[2:3]
	s_andn2_b64 exec, exec, s[2:3]
	s_cbranch_execnz .LBB33_60
; %bb.61:
	s_or_b64 exec, exec, s[2:3]
.LBB33_62:
	s_or_b64 exec, exec, s[0:1]
	v_lshl_add_u32 v22, v24, 2, v18
	v_add_u32_e32 v18, v23, v20
	v_sub_u32_e32 v18, v18, v24
	v_lshl_add_u32 v25, v18, 2, v8
	ds_read_b32 v18, v22
	ds_read_b32 v19, v25 offset:112
	v_add_u32_e32 v16, 28, v23
	v_add_u32_e32 v20, v16, v20
	;; [unrolled: 1-line block ×3, first 2 shown]
	v_sub_u32_e32 v20, v20, v24
	v_cmp_lt_i32_e64 s[0:1], 27, v24
	s_waitcnt lgkmcnt(0)
	v_cmp_gt_i32_e64 s[2:3], v19, v18
	v_cmp_gt_i32_e32 vcc, v17, v20
	s_or_b64 s[0:1], s[0:1], s[2:3]
	s_and_b64 vcc, vcc, s[0:1]
	s_xor_b64 s[0:1], vcc, -1
                                        ; implicit-def: $vgpr21
	s_and_saveexec_b64 s[2:3], s[0:1]
	s_xor_b64 s[0:1], exec, s[2:3]
; %bb.63:
	ds_read_b32 v21, v22 offset:4
                                        ; implicit-def: $vgpr25
; %bb.64:
	s_or_saveexec_b64 s[0:1], s[0:1]
	v_mov_b32_e32 v22, v19
	s_xor_b64 exec, exec, s[0:1]
	s_cbranch_execz .LBB33_66
; %bb.65:
	ds_read_b32 v22, v25 offset:116
	s_waitcnt lgkmcnt(1)
	v_mov_b32_e32 v21, v18
.LBB33_66:
	s_or_b64 exec, exec, s[0:1]
	v_add_u32_e32 v23, v24, v23
	v_add_u32_e32 v25, 1, v23
	v_add_u32_e32 v24, 1, v20
	v_cndmask_b32_e32 v25, v25, v23, vcc
	v_cndmask_b32_e32 v24, v20, v24, vcc
	v_cmp_ge_i32_e64 s[2:3], v25, v16
	s_waitcnt lgkmcnt(0)
	v_cmp_gt_i32_e64 s[4:5], v22, v21
	v_cmp_lt_i32_e64 s[0:1], v24, v17
	s_or_b64 s[2:3], s[2:3], s[4:5]
	s_and_b64 s[0:1], s[0:1], s[2:3]
	s_xor_b64 s[2:3], s[0:1], -1
                                        ; implicit-def: $vgpr26
	s_and_saveexec_b64 s[4:5], s[2:3]
	s_xor_b64 s[2:3], exec, s[4:5]
; %bb.67:
	v_lshl_add_u32 v26, v25, 2, v8
	ds_read_b32 v26, v26 offset:4
; %bb.68:
	s_or_saveexec_b64 s[2:3], s[2:3]
	v_mov_b32_e32 v27, v22
	s_xor_b64 exec, exec, s[2:3]
	s_cbranch_execz .LBB33_70
; %bb.69:
	s_waitcnt lgkmcnt(0)
	v_lshl_add_u32 v26, v24, 2, v8
	ds_read_b32 v27, v26 offset:4
	v_mov_b32_e32 v26, v21
.LBB33_70:
	s_or_b64 exec, exec, s[2:3]
	v_add_u32_e32 v29, 1, v25
	v_add_u32_e32 v28, 1, v24
	v_cndmask_b32_e64 v29, v29, v25, s[0:1]
	v_cndmask_b32_e64 v28, v24, v28, s[0:1]
	v_cmp_ge_i32_e64 s[4:5], v29, v16
	s_waitcnt lgkmcnt(0)
	v_cmp_gt_i32_e64 s[6:7], v27, v26
	v_cmp_lt_i32_e64 s[2:3], v28, v17
	s_or_b64 s[4:5], s[4:5], s[6:7]
	s_and_b64 s[2:3], s[2:3], s[4:5]
	s_xor_b64 s[4:5], s[2:3], -1
                                        ; implicit-def: $vgpr30
	s_and_saveexec_b64 s[6:7], s[4:5]
	s_xor_b64 s[4:5], exec, s[6:7]
; %bb.71:
	v_lshl_add_u32 v30, v29, 2, v8
	ds_read_b32 v30, v30 offset:4
; %bb.72:
	s_or_saveexec_b64 s[4:5], s[4:5]
	v_mov_b32_e32 v31, v27
	s_xor_b64 exec, exec, s[4:5]
	s_cbranch_execz .LBB33_74
; %bb.73:
	s_waitcnt lgkmcnt(0)
	v_lshl_add_u32 v30, v28, 2, v8
	ds_read_b32 v31, v30 offset:4
	v_mov_b32_e32 v30, v26
.LBB33_74:
	s_or_b64 exec, exec, s[4:5]
	v_add_u32_e32 v33, 1, v29
	v_add_u32_e32 v32, 1, v28
	v_cndmask_b32_e64 v33, v33, v29, s[2:3]
	v_cndmask_b32_e64 v32, v28, v32, s[2:3]
	v_cmp_ge_i32_e64 s[6:7], v33, v16
	s_waitcnt lgkmcnt(0)
	v_cmp_gt_i32_e64 s[8:9], v31, v30
	v_cmp_lt_i32_e64 s[4:5], v32, v17
	s_or_b64 s[6:7], s[6:7], s[8:9]
	s_and_b64 s[4:5], s[4:5], s[6:7]
	s_xor_b64 s[6:7], s[4:5], -1
                                        ; implicit-def: $vgpr34
	s_and_saveexec_b64 s[8:9], s[6:7]
	s_xor_b64 s[6:7], exec, s[8:9]
; %bb.75:
	v_lshl_add_u32 v34, v33, 2, v8
	ds_read_b32 v34, v34 offset:4
; %bb.76:
	s_or_saveexec_b64 s[6:7], s[6:7]
	v_mov_b32_e32 v35, v31
	s_xor_b64 exec, exec, s[6:7]
	s_cbranch_execz .LBB33_78
; %bb.77:
	s_waitcnt lgkmcnt(0)
	v_lshl_add_u32 v34, v32, 2, v8
	ds_read_b32 v35, v34 offset:4
	v_mov_b32_e32 v34, v30
.LBB33_78:
	s_or_b64 exec, exec, s[6:7]
	v_add_u32_e32 v37, 1, v33
	v_add_u32_e32 v36, 1, v32
	v_cndmask_b32_e64 v37, v37, v33, s[4:5]
	v_cndmask_b32_e64 v36, v32, v36, s[4:5]
	v_cmp_ge_i32_e64 s[8:9], v37, v16
	s_waitcnt lgkmcnt(0)
	v_cmp_gt_i32_e64 s[10:11], v35, v34
	v_cmp_lt_i32_e64 s[6:7], v36, v17
	s_or_b64 s[8:9], s[8:9], s[10:11]
	s_and_b64 s[6:7], s[6:7], s[8:9]
	s_xor_b64 s[8:9], s[6:7], -1
                                        ; implicit-def: $vgpr38
	s_and_saveexec_b64 s[10:11], s[8:9]
	s_xor_b64 s[8:9], exec, s[10:11]
; %bb.79:
	v_lshl_add_u32 v38, v37, 2, v8
	ds_read_b32 v38, v38 offset:4
; %bb.80:
	s_or_saveexec_b64 s[8:9], s[8:9]
	v_mov_b32_e32 v39, v35
	s_xor_b64 exec, exec, s[8:9]
	s_cbranch_execz .LBB33_82
; %bb.81:
	s_waitcnt lgkmcnt(0)
	v_lshl_add_u32 v38, v36, 2, v8
	ds_read_b32 v39, v38 offset:4
	v_mov_b32_e32 v38, v34
.LBB33_82:
	s_or_b64 exec, exec, s[8:9]
	v_add_u32_e32 v42, 1, v37
	v_add_u32_e32 v40, 1, v36
	v_cndmask_b32_e64 v42, v42, v37, s[6:7]
	v_cndmask_b32_e64 v41, v36, v40, s[6:7]
	v_cmp_ge_i32_e64 s[10:11], v42, v16
	s_waitcnt lgkmcnt(0)
	v_cmp_gt_i32_e64 s[12:13], v39, v38
	v_cmp_lt_i32_e64 s[8:9], v41, v17
	s_or_b64 s[10:11], s[10:11], s[12:13]
	s_and_b64 s[8:9], s[8:9], s[10:11]
	s_xor_b64 s[10:11], s[8:9], -1
                                        ; implicit-def: $vgpr40
	s_and_saveexec_b64 s[12:13], s[10:11]
	s_xor_b64 s[10:11], exec, s[12:13]
; %bb.83:
	v_lshl_add_u32 v40, v42, 2, v8
	ds_read_b32 v40, v40 offset:4
; %bb.84:
	s_or_saveexec_b64 s[10:11], s[10:11]
	v_mov_b32_e32 v43, v39
	s_xor_b64 exec, exec, s[10:11]
	s_cbranch_execz .LBB33_86
; %bb.85:
	s_waitcnt lgkmcnt(0)
	v_lshl_add_u32 v40, v41, 2, v8
	ds_read_b32 v43, v40 offset:4
	v_mov_b32_e32 v40, v38
.LBB33_86:
	s_or_b64 exec, exec, s[10:11]
	v_add_u32_e32 v44, 1, v42
	v_cndmask_b32_e64 v38, v38, v39, s[8:9]
	v_add_u32_e32 v39, 1, v41
	v_cndmask_b32_e64 v44, v44, v42, s[8:9]
	v_cndmask_b32_e64 v39, v41, v39, s[8:9]
	;; [unrolled: 1-line block ×6, first 2 shown]
	v_cmp_ge_i32_e64 s[0:1], v44, v16
	s_waitcnt lgkmcnt(0)
	v_cmp_gt_i32_e64 s[2:3], v43, v40
	v_cndmask_b32_e32 v18, v18, v19, vcc
	v_cndmask_b32_e32 v19, v23, v20, vcc
	v_cmp_lt_i32_e32 vcc, v39, v17
	s_or_b64 s[0:1], s[0:1], s[2:3]
	s_and_b64 vcc, vcc, s[0:1]
	v_cndmask_b32_e64 v41, v42, v41, s[8:9]
	v_cndmask_b32_e64 v34, v34, v35, s[6:7]
	;; [unrolled: 1-line block ×5, first 2 shown]
	v_cndmask_b32_e32 v17, v44, v39, vcc
	; wave barrier
	ds_write2_b32 v7, v9, v10 offset1:1
	ds_write2_b32 v7, v11, v12 offset0:2 offset1:3
	ds_write2_b32 v7, v13, v14 offset0:4 offset1:5
	ds_write_b32 v7, v15 offset:24
	v_lshl_add_u32 v9, v19, 2, v8
	v_lshl_add_u32 v10, v22, 2, v8
	;; [unrolled: 1-line block ×7, first 2 shown]
	; wave barrier
	ds_read_b32 v9, v9
	ds_read_b32 v10, v10
	;; [unrolled: 1-line block ×7, first 2 shown]
	v_cndmask_b32_e32 v16, v40, v43, vcc
	; wave barrier
	ds_write2_b32 v7, v18, v21 offset1:1
	ds_write2_b32 v7, v26, v30 offset0:2 offset1:3
	ds_write2_b32 v7, v34, v38 offset0:4 offset1:5
	ds_write_b32 v7, v16 offset:24
	v_and_b32_e32 v16, 16, v2
	v_mul_u32_u24_e32 v22, 7, v16
	v_and_b32_e32 v2, 15, v2
	v_not_b32_e32 v16, 55
	v_mul_u32_u24_e32 v19, 7, v2
	v_mad_u32_u24 v16, v2, 7, v16
	v_cmp_lt_u32_e32 vcc, 7, v2
	v_cndmask_b32_e32 v23, 0, v16, vcc
	v_min_u32_e32 v2, 56, v19
	v_lshl_add_u32 v17, v22, 2, v8
	v_cmp_lt_i32_e32 vcc, v23, v2
	; wave barrier
	s_and_saveexec_b64 s[0:1], vcc
	s_cbranch_execz .LBB33_90
; %bb.87:
	v_lshl_add_u32 v16, v19, 2, v17
	s_mov_b64 s[2:3], 0
.LBB33_88:                              ; =>This Inner Loop Header: Depth=1
	v_sub_u32_e32 v18, v2, v23
	v_lshrrev_b32_e32 v18, 1, v18
	v_add_u32_e32 v18, v18, v23
	v_not_b32_e32 v21, v18
	v_lshl_add_u32 v20, v18, 2, v17
	v_lshl_add_u32 v21, v21, 2, v16
	ds_read_b32 v20, v20
	ds_read_b32 v21, v21 offset:224
	v_add_u32_e32 v24, 1, v18
	s_waitcnt lgkmcnt(0)
	v_cmp_gt_i32_e32 vcc, v21, v20
	v_cndmask_b32_e32 v2, v2, v18, vcc
	v_cndmask_b32_e32 v23, v24, v23, vcc
	v_cmp_ge_i32_e32 vcc, v23, v2
	s_or_b64 s[2:3], vcc, s[2:3]
	s_andn2_b64 exec, exec, s[2:3]
	s_cbranch_execnz .LBB33_88
; %bb.89:
	s_or_b64 exec, exec, s[2:3]
.LBB33_90:
	s_or_b64 exec, exec, s[0:1]
	v_lshl_add_u32 v21, v23, 2, v17
	v_add_u32_e32 v17, v22, v19
	v_sub_u32_e32 v17, v17, v23
	v_lshl_add_u32 v24, v17, 2, v8
	ds_read_b32 v17, v21
	ds_read_b32 v18, v24 offset:224
	v_add_u32_e32 v2, 56, v22
	v_add_u32_e32 v19, v2, v19
	;; [unrolled: 1-line block ×3, first 2 shown]
	v_sub_u32_e32 v19, v19, v23
	v_cmp_lt_i32_e64 s[0:1], 55, v23
	s_waitcnt lgkmcnt(0)
	v_cmp_gt_i32_e64 s[2:3], v18, v17
	v_cmp_gt_i32_e32 vcc, v16, v19
	s_or_b64 s[0:1], s[0:1], s[2:3]
	s_and_b64 vcc, vcc, s[0:1]
	s_xor_b64 s[0:1], vcc, -1
                                        ; implicit-def: $vgpr20
	s_and_saveexec_b64 s[2:3], s[0:1]
	s_xor_b64 s[0:1], exec, s[2:3]
; %bb.91:
	ds_read_b32 v20, v21 offset:4
                                        ; implicit-def: $vgpr24
; %bb.92:
	s_or_saveexec_b64 s[0:1], s[0:1]
	v_mov_b32_e32 v21, v18
	s_xor_b64 exec, exec, s[0:1]
	s_cbranch_execz .LBB33_94
; %bb.93:
	ds_read_b32 v21, v24 offset:228
	s_waitcnt lgkmcnt(1)
	v_mov_b32_e32 v20, v17
.LBB33_94:
	s_or_b64 exec, exec, s[0:1]
	v_add_u32_e32 v22, v23, v22
	v_add_u32_e32 v24, 1, v22
	;; [unrolled: 1-line block ×3, first 2 shown]
	v_cndmask_b32_e32 v24, v24, v22, vcc
	v_cndmask_b32_e32 v23, v19, v23, vcc
	v_cmp_ge_i32_e64 s[2:3], v24, v2
	s_waitcnt lgkmcnt(0)
	v_cmp_gt_i32_e64 s[4:5], v21, v20
	v_cmp_lt_i32_e64 s[0:1], v23, v16
	s_or_b64 s[2:3], s[2:3], s[4:5]
	s_and_b64 s[0:1], s[0:1], s[2:3]
	s_xor_b64 s[2:3], s[0:1], -1
                                        ; implicit-def: $vgpr25
	s_and_saveexec_b64 s[4:5], s[2:3]
	s_xor_b64 s[2:3], exec, s[4:5]
; %bb.95:
	v_lshl_add_u32 v25, v24, 2, v8
	ds_read_b32 v25, v25 offset:4
; %bb.96:
	s_or_saveexec_b64 s[2:3], s[2:3]
	v_mov_b32_e32 v26, v21
	s_xor_b64 exec, exec, s[2:3]
	s_cbranch_execz .LBB33_98
; %bb.97:
	s_waitcnt lgkmcnt(0)
	v_lshl_add_u32 v25, v23, 2, v8
	ds_read_b32 v26, v25 offset:4
	v_mov_b32_e32 v25, v20
.LBB33_98:
	s_or_b64 exec, exec, s[2:3]
	v_add_u32_e32 v28, 1, v24
	v_add_u32_e32 v27, 1, v23
	v_cndmask_b32_e64 v28, v28, v24, s[0:1]
	v_cndmask_b32_e64 v27, v23, v27, s[0:1]
	v_cmp_ge_i32_e64 s[4:5], v28, v2
	s_waitcnt lgkmcnt(0)
	v_cmp_gt_i32_e64 s[6:7], v26, v25
	v_cmp_lt_i32_e64 s[2:3], v27, v16
	s_or_b64 s[4:5], s[4:5], s[6:7]
	s_and_b64 s[2:3], s[2:3], s[4:5]
	s_xor_b64 s[4:5], s[2:3], -1
                                        ; implicit-def: $vgpr29
	s_and_saveexec_b64 s[6:7], s[4:5]
	s_xor_b64 s[4:5], exec, s[6:7]
; %bb.99:
	v_lshl_add_u32 v29, v28, 2, v8
	ds_read_b32 v29, v29 offset:4
; %bb.100:
	s_or_saveexec_b64 s[4:5], s[4:5]
	v_mov_b32_e32 v30, v26
	s_xor_b64 exec, exec, s[4:5]
	s_cbranch_execz .LBB33_102
; %bb.101:
	s_waitcnt lgkmcnt(0)
	v_lshl_add_u32 v29, v27, 2, v8
	ds_read_b32 v30, v29 offset:4
	v_mov_b32_e32 v29, v25
.LBB33_102:
	s_or_b64 exec, exec, s[4:5]
	v_add_u32_e32 v32, 1, v28
	v_add_u32_e32 v31, 1, v27
	v_cndmask_b32_e64 v32, v32, v28, s[2:3]
	v_cndmask_b32_e64 v31, v27, v31, s[2:3]
	v_cmp_ge_i32_e64 s[6:7], v32, v2
	s_waitcnt lgkmcnt(0)
	v_cmp_gt_i32_e64 s[8:9], v30, v29
	v_cmp_lt_i32_e64 s[4:5], v31, v16
	s_or_b64 s[6:7], s[6:7], s[8:9]
	s_and_b64 s[4:5], s[4:5], s[6:7]
	s_xor_b64 s[6:7], s[4:5], -1
                                        ; implicit-def: $vgpr33
	s_and_saveexec_b64 s[8:9], s[6:7]
	s_xor_b64 s[6:7], exec, s[8:9]
; %bb.103:
	v_lshl_add_u32 v33, v32, 2, v8
	ds_read_b32 v33, v33 offset:4
; %bb.104:
	s_or_saveexec_b64 s[6:7], s[6:7]
	v_mov_b32_e32 v34, v30
	s_xor_b64 exec, exec, s[6:7]
	s_cbranch_execz .LBB33_106
; %bb.105:
	s_waitcnt lgkmcnt(0)
	v_lshl_add_u32 v33, v31, 2, v8
	ds_read_b32 v34, v33 offset:4
	v_mov_b32_e32 v33, v29
.LBB33_106:
	s_or_b64 exec, exec, s[6:7]
	v_add_u32_e32 v36, 1, v32
	v_add_u32_e32 v35, 1, v31
	v_cndmask_b32_e64 v36, v36, v32, s[4:5]
	v_cndmask_b32_e64 v35, v31, v35, s[4:5]
	v_cmp_ge_i32_e64 s[8:9], v36, v2
	s_waitcnt lgkmcnt(0)
	v_cmp_gt_i32_e64 s[10:11], v34, v33
	v_cmp_lt_i32_e64 s[6:7], v35, v16
	s_or_b64 s[8:9], s[8:9], s[10:11]
	s_and_b64 s[6:7], s[6:7], s[8:9]
	s_xor_b64 s[8:9], s[6:7], -1
                                        ; implicit-def: $vgpr37
	s_and_saveexec_b64 s[10:11], s[8:9]
	s_xor_b64 s[8:9], exec, s[10:11]
; %bb.107:
	v_lshl_add_u32 v37, v36, 2, v8
	ds_read_b32 v37, v37 offset:4
; %bb.108:
	s_or_saveexec_b64 s[8:9], s[8:9]
	v_mov_b32_e32 v38, v34
	s_xor_b64 exec, exec, s[8:9]
	s_cbranch_execz .LBB33_110
; %bb.109:
	s_waitcnt lgkmcnt(0)
	v_lshl_add_u32 v37, v35, 2, v8
	ds_read_b32 v38, v37 offset:4
	v_mov_b32_e32 v37, v33
.LBB33_110:
	s_or_b64 exec, exec, s[8:9]
	v_add_u32_e32 v41, 1, v36
	v_add_u32_e32 v39, 1, v35
	v_cndmask_b32_e64 v41, v41, v36, s[6:7]
	v_cndmask_b32_e64 v40, v35, v39, s[6:7]
	v_cmp_ge_i32_e64 s[10:11], v41, v2
	s_waitcnt lgkmcnt(0)
	v_cmp_gt_i32_e64 s[12:13], v38, v37
	v_cmp_lt_i32_e64 s[8:9], v40, v16
	s_or_b64 s[10:11], s[10:11], s[12:13]
	s_and_b64 s[8:9], s[8:9], s[10:11]
	s_xor_b64 s[10:11], s[8:9], -1
                                        ; implicit-def: $vgpr39
	s_and_saveexec_b64 s[12:13], s[10:11]
	s_xor_b64 s[10:11], exec, s[12:13]
; %bb.111:
	v_lshl_add_u32 v39, v41, 2, v8
	ds_read_b32 v39, v39 offset:4
; %bb.112:
	s_or_saveexec_b64 s[10:11], s[10:11]
	v_mov_b32_e32 v42, v38
	s_xor_b64 exec, exec, s[10:11]
	s_cbranch_execz .LBB33_114
; %bb.113:
	s_waitcnt lgkmcnt(0)
	v_lshl_add_u32 v39, v40, 2, v8
	ds_read_b32 v42, v39 offset:4
	v_mov_b32_e32 v39, v37
.LBB33_114:
	s_or_b64 exec, exec, s[10:11]
	v_add_u32_e32 v43, 1, v41
	v_cndmask_b32_e64 v37, v37, v38, s[8:9]
	v_add_u32_e32 v38, 1, v40
	v_cndmask_b32_e64 v43, v43, v41, s[8:9]
	v_cndmask_b32_e64 v38, v40, v38, s[8:9]
	;; [unrolled: 1-line block ×6, first 2 shown]
	v_cmp_ge_i32_e64 s[0:1], v43, v2
	s_waitcnt lgkmcnt(0)
	v_cmp_gt_i32_e64 s[2:3], v42, v39
	v_cndmask_b32_e32 v17, v17, v18, vcc
	v_cndmask_b32_e32 v18, v22, v19, vcc
	v_cmp_lt_i32_e32 vcc, v38, v16
	s_or_b64 s[0:1], s[0:1], s[2:3]
	s_and_b64 vcc, vcc, s[0:1]
	v_cndmask_b32_e64 v40, v41, v40, s[8:9]
	v_cndmask_b32_e64 v33, v33, v34, s[6:7]
	;; [unrolled: 1-line block ×5, first 2 shown]
	v_cndmask_b32_e32 v16, v43, v38, vcc
	; wave barrier
	ds_write2_b32 v7, v9, v10 offset1:1
	ds_write2_b32 v7, v11, v12 offset0:2 offset1:3
	ds_write2_b32 v7, v13, v14 offset0:4 offset1:5
	ds_write_b32 v7, v15 offset:24
	v_lshl_add_u32 v9, v18, 2, v8
	v_lshl_add_u32 v10, v21, 2, v8
	;; [unrolled: 1-line block ×7, first 2 shown]
	; wave barrier
	ds_read_b32 v9, v9
	ds_read_b32 v10, v10
	;; [unrolled: 1-line block ×7, first 2 shown]
	v_cndmask_b32_e32 v2, v39, v42, vcc
	; wave barrier
	ds_write2_b32 v7, v17, v20 offset1:1
	ds_write2_b32 v7, v25, v29 offset0:2 offset1:3
	ds_write2_b32 v7, v33, v37 offset0:4 offset1:5
	ds_write_b32 v7, v2 offset:24
	v_add_u32_e32 v2, 0xffffff90, v0
	v_cmp_lt_u32_e32 vcc, 15, v1
	v_cndmask_b32_e32 v2, 0, v2, vcc
	v_min_u32_e32 v1, 0x70, v0
	v_cmp_lt_u32_e32 vcc, v2, v1
	; wave barrier
	s_and_saveexec_b64 s[0:1], vcc
	s_cbranch_execz .LBB33_118
; %bb.115:
	s_mov_b64 s[2:3], 0
.LBB33_116:                             ; =>This Inner Loop Header: Depth=1
	v_sub_u32_e32 v16, v1, v2
	v_lshrrev_b32_e32 v16, 1, v16
	v_add_u32_e32 v16, v16, v2
	v_not_b32_e32 v18, v16
	v_lshl_add_u32 v17, v16, 2, v8
	v_lshl_add_u32 v18, v18, 2, v7
	ds_read_b32 v17, v17
	ds_read_b32 v18, v18 offset:448
	v_add_u32_e32 v19, 1, v16
	s_waitcnt lgkmcnt(0)
	v_cmp_gt_i32_e32 vcc, v18, v17
	v_cndmask_b32_e32 v1, v1, v16, vcc
	v_cndmask_b32_e32 v2, v19, v2, vcc
	v_cmp_ge_i32_e32 vcc, v2, v1
	s_or_b64 s[2:3], vcc, s[2:3]
	s_andn2_b64 exec, exec, s[2:3]
	s_cbranch_execnz .LBB33_116
; %bb.117:
	s_or_b64 exec, exec, s[2:3]
.LBB33_118:
	s_or_b64 exec, exec, s[0:1]
	v_sub_u32_e32 v0, v0, v2
	v_lshl_add_u32 v1, v2, 2, v8
	v_add_u32_e32 v18, 0x70, v0
	v_lshl_add_u32 v0, v0, 2, v8
	ds_read_b32 v16, v1
	ds_read_b32 v17, v0 offset:448
	s_movk_i32 s0, 0xe0
	v_cmp_gt_i32_e32 vcc, s0, v18
	s_movk_i32 s0, 0x6f
	v_cmp_lt_i32_e64 s[0:1], s0, v2
	s_waitcnt lgkmcnt(0)
	v_cmp_gt_i32_e64 s[2:3], v17, v16
	s_or_b64 s[0:1], s[0:1], s[2:3]
	s_and_b64 vcc, vcc, s[0:1]
	s_xor_b64 s[0:1], vcc, -1
                                        ; implicit-def: $vgpr19
	s_and_saveexec_b64 s[2:3], s[0:1]
	s_xor_b64 s[0:1], exec, s[2:3]
; %bb.119:
	ds_read_b32 v19, v1 offset:4
                                        ; implicit-def: $vgpr0
; %bb.120:
	s_or_saveexec_b64 s[0:1], s[0:1]
	v_mov_b32_e32 v20, v17
	s_xor_b64 exec, exec, s[0:1]
	s_cbranch_execz .LBB33_122
; %bb.121:
	ds_read_b32 v20, v0 offset:452
	s_waitcnt lgkmcnt(1)
	v_mov_b32_e32 v19, v16
.LBB33_122:
	s_or_b64 exec, exec, s[0:1]
	v_add_u32_e32 v1, 1, v2
	v_add_u32_e32 v0, 1, v18
	v_cndmask_b32_e32 v22, v1, v2, vcc
	s_movk_i32 s2, 0x6f
	v_cndmask_b32_e32 v21, v18, v0, vcc
	s_movk_i32 s0, 0xe0
	v_cmp_lt_i32_e64 s[2:3], s2, v22
	s_waitcnt lgkmcnt(0)
	v_cmp_gt_i32_e64 s[4:5], v20, v19
	v_cmp_gt_i32_e64 s[0:1], s0, v21
	s_or_b64 s[2:3], s[2:3], s[4:5]
	s_and_b64 s[0:1], s[0:1], s[2:3]
	s_xor_b64 s[2:3], s[0:1], -1
                                        ; implicit-def: $vgpr23
	s_and_saveexec_b64 s[4:5], s[2:3]
	s_xor_b64 s[2:3], exec, s[4:5]
; %bb.123:
	v_lshl_add_u32 v0, v22, 2, v8
	ds_read_b32 v23, v0 offset:4
; %bb.124:
	s_or_saveexec_b64 s[2:3], s[2:3]
	v_mov_b32_e32 v24, v20
	s_xor_b64 exec, exec, s[2:3]
	s_cbranch_execz .LBB33_126
; %bb.125:
	v_lshl_add_u32 v0, v21, 2, v8
	ds_read_b32 v24, v0 offset:4
	s_waitcnt lgkmcnt(1)
	v_mov_b32_e32 v23, v19
.LBB33_126:
	s_or_b64 exec, exec, s[2:3]
	v_add_u32_e32 v1, 1, v22
	v_add_u32_e32 v0, 1, v21
	v_cndmask_b32_e64 v26, v1, v22, s[0:1]
	s_movk_i32 s4, 0x6f
	v_cndmask_b32_e64 v25, v21, v0, s[0:1]
	s_movk_i32 s2, 0xe0
	v_cmp_lt_i32_e64 s[4:5], s4, v26
	s_waitcnt lgkmcnt(0)
	v_cmp_gt_i32_e64 s[6:7], v24, v23
	v_cmp_gt_i32_e64 s[2:3], s2, v25
	s_or_b64 s[4:5], s[4:5], s[6:7]
	s_and_b64 s[2:3], s[2:3], s[4:5]
	s_xor_b64 s[4:5], s[2:3], -1
                                        ; implicit-def: $vgpr27
	s_and_saveexec_b64 s[6:7], s[4:5]
	s_xor_b64 s[4:5], exec, s[6:7]
; %bb.127:
	v_lshl_add_u32 v0, v26, 2, v8
	ds_read_b32 v27, v0 offset:4
; %bb.128:
	s_or_saveexec_b64 s[4:5], s[4:5]
	v_mov_b32_e32 v28, v24
	s_xor_b64 exec, exec, s[4:5]
	s_cbranch_execz .LBB33_130
; %bb.129:
	v_lshl_add_u32 v0, v25, 2, v8
	ds_read_b32 v28, v0 offset:4
	s_waitcnt lgkmcnt(1)
	v_mov_b32_e32 v27, v23
.LBB33_130:
	s_or_b64 exec, exec, s[4:5]
	v_add_u32_e32 v1, 1, v26
	v_add_u32_e32 v0, 1, v25
	v_cndmask_b32_e64 v30, v1, v26, s[2:3]
	s_movk_i32 s6, 0x6f
	v_cndmask_b32_e64 v29, v25, v0, s[2:3]
	s_movk_i32 s4, 0xe0
	v_cmp_lt_i32_e64 s[6:7], s6, v30
	s_waitcnt lgkmcnt(0)
	v_cmp_gt_i32_e64 s[8:9], v28, v27
	v_cmp_gt_i32_e64 s[4:5], s4, v29
	s_or_b64 s[6:7], s[6:7], s[8:9]
	s_and_b64 s[4:5], s[4:5], s[6:7]
	s_xor_b64 s[6:7], s[4:5], -1
                                        ; implicit-def: $vgpr0
	s_and_saveexec_b64 s[8:9], s[6:7]
	s_xor_b64 s[6:7], exec, s[8:9]
; %bb.131:
	v_lshl_add_u32 v0, v30, 2, v8
	ds_read_b32 v0, v0 offset:4
; %bb.132:
	s_or_saveexec_b64 s[6:7], s[6:7]
	v_mov_b32_e32 v31, v28
	s_xor_b64 exec, exec, s[6:7]
	s_cbranch_execz .LBB33_134
; %bb.133:
	s_waitcnt lgkmcnt(0)
	v_lshl_add_u32 v0, v29, 2, v8
	ds_read_b32 v31, v0 offset:4
	v_mov_b32_e32 v0, v27
.LBB33_134:
	s_or_b64 exec, exec, s[6:7]
	v_add_u32_e32 v33, 1, v30
	v_add_u32_e32 v1, 1, v29
	v_cndmask_b32_e64 v33, v33, v30, s[4:5]
	s_movk_i32 s8, 0x6f
	v_cndmask_b32_e64 v32, v29, v1, s[4:5]
	s_movk_i32 s6, 0xe0
	v_cmp_lt_i32_e64 s[8:9], s8, v33
	s_waitcnt lgkmcnt(0)
	v_cmp_gt_i32_e64 s[10:11], v31, v0
	v_cmp_gt_i32_e64 s[6:7], s6, v32
	s_or_b64 s[8:9], s[8:9], s[10:11]
	s_and_b64 s[6:7], s[6:7], s[8:9]
	s_xor_b64 s[8:9], s[6:7], -1
                                        ; implicit-def: $vgpr35
	s_and_saveexec_b64 s[10:11], s[8:9]
	s_xor_b64 s[8:9], exec, s[10:11]
; %bb.135:
	v_lshl_add_u32 v1, v33, 2, v8
	ds_read_b32 v35, v1 offset:4
; %bb.136:
	s_or_saveexec_b64 s[8:9], s[8:9]
	v_mov_b32_e32 v34, v31
	s_xor_b64 exec, exec, s[8:9]
	s_cbranch_execz .LBB33_138
; %bb.137:
	v_lshl_add_u32 v1, v32, 2, v8
	ds_read_b32 v34, v1 offset:4
	s_waitcnt lgkmcnt(1)
	v_mov_b32_e32 v35, v0
.LBB33_138:
	s_or_b64 exec, exec, s[8:9]
	v_add_u32_e32 v37, 1, v33
	v_add_u32_e32 v1, 1, v32
	v_cndmask_b32_e64 v40, v37, v33, s[6:7]
	s_movk_i32 s10, 0x70
	v_cndmask_b32_e64 v36, v32, v1, s[6:7]
	s_movk_i32 s8, 0xdf
	v_cmp_gt_i32_e64 s[10:11], s10, v40
	s_waitcnt lgkmcnt(0)
	v_cmp_le_i32_e64 s[12:13], v34, v35
	v_cmp_lt_i32_e64 s[8:9], s8, v36
	s_and_b64 s[10:11], s[10:11], s[12:13]
	s_or_b64 s[8:9], s[8:9], s[10:11]
                                        ; implicit-def: $vgpr38
                                        ; implicit-def: $vgpr37
	s_and_saveexec_b64 s[10:11], s[8:9]
	s_xor_b64 s[8:9], exec, s[10:11]
; %bb.139:
	v_lshl_add_u32 v1, v40, 2, v8
	ds_read_b32 v38, v1 offset:4
	v_add_u32_e32 v37, 1, v40
; %bb.140:
	s_or_saveexec_b64 s[8:9], s[8:9]
	v_mov_b32_e32 v1, v35
	v_mov_b32_e32 v39, v40
	s_xor_b64 exec, exec, s[8:9]
	s_cbranch_execz .LBB33_142
; %bb.141:
	v_lshl_add_u32 v1, v36, 2, v8
	ds_read_b32 v41, v1 offset:4
	s_waitcnt lgkmcnt(1)
	v_add_u32_e32 v38, 1, v36
	v_mov_b32_e32 v1, v34
	v_mov_b32_e32 v39, v36
	;; [unrolled: 1-line block ×5, first 2 shown]
	s_waitcnt lgkmcnt(0)
	v_mov_b32_e32 v34, v41
.LBB33_142:
	s_or_b64 exec, exec, s[8:9]
	v_cndmask_b32_e64 v41, v23, v24, s[2:3]
	v_cndmask_b32_e64 v23, v26, v25, s[2:3]
	s_movk_i32 s2, 0x6f
	v_cndmask_b32_e64 v42, v27, v28, s[4:5]
	v_cndmask_b32_e64 v40, v19, v20, s[0:1]
	;; [unrolled: 1-line block ×4, first 2 shown]
	s_movk_i32 s0, 0xe0
	v_cmp_lt_i32_e64 s[2:3], s2, v37
	s_waitcnt lgkmcnt(0)
	v_cmp_gt_i32_e64 s[4:5], v34, v38
	v_cmp_gt_i32_e64 s[0:1], s0, v36
	s_or_b64 s[2:3], s[2:3], s[4:5]
	v_cndmask_b32_e64 v19, v33, v32, s[6:7]
	v_cndmask_b32_e32 v18, v2, v18, vcc
	s_and_b64 s[0:1], s[0:1], s[2:3]
	v_cndmask_b32_e64 v22, v37, v36, s[0:1]
	; wave barrier
	ds_write2_b32 v7, v9, v10 offset1:1
	ds_write2_b32 v7, v11, v12 offset0:2 offset1:3
	ds_write2_b32 v7, v13, v14 offset0:4 offset1:5
	ds_write_b32 v7, v15 offset:24
	v_lshl_add_u32 v7, v18, 2, v8
	v_lshl_add_u32 v9, v21, 2, v8
	;; [unrolled: 1-line block ×6, first 2 shown]
	; wave barrier
	v_lshl_add_u32 v14, v22, 2, v8
	ds_read_b32 v7, v7
	ds_read_b32 v8, v9
	;; [unrolled: 1-line block ×7, first 2 shown]
	v_cndmask_b32_e32 v39, v16, v17, vcc
	v_cndmask_b32_e64 v0, v0, v31, s[6:7]
	v_cndmask_b32_e64 v2, v38, v34, s[0:1]
	global_store_dwordx4 v[5:6], v[39:42], off
	global_store_dwordx3 v[5:6], v[0:2], off offset:16
	s_waitcnt lgkmcnt(3)
	global_store_dwordx4 v[3:4], v[7:10], off
	s_waitcnt lgkmcnt(0)
	global_store_dwordx3 v[3:4], v[11:13], off offset:16
	s_endpgm
	.section	.rodata,"a",@progbits
	.p2align	6, 0x0
	.amdhsa_kernel _Z21sort_keys_values_fullILj256ELj32ELj7ELb0EiN10test_utils16custom_test_typeIsEENS0_7greaterEEvPT3_PT4_T5_
		.amdhsa_group_segment_fixed_size 7200
		.amdhsa_private_segment_fixed_size 0
		.amdhsa_kernarg_size 20
		.amdhsa_user_sgpr_count 6
		.amdhsa_user_sgpr_private_segment_buffer 1
		.amdhsa_user_sgpr_dispatch_ptr 0
		.amdhsa_user_sgpr_queue_ptr 0
		.amdhsa_user_sgpr_kernarg_segment_ptr 1
		.amdhsa_user_sgpr_dispatch_id 0
		.amdhsa_user_sgpr_flat_scratch_init 0
		.amdhsa_user_sgpr_private_segment_size 0
		.amdhsa_uses_dynamic_stack 0
		.amdhsa_system_sgpr_private_segment_wavefront_offset 0
		.amdhsa_system_sgpr_workgroup_id_x 1
		.amdhsa_system_sgpr_workgroup_id_y 0
		.amdhsa_system_sgpr_workgroup_id_z 0
		.amdhsa_system_sgpr_workgroup_info 0
		.amdhsa_system_vgpr_workitem_id 0
		.amdhsa_next_free_vgpr 50
		.amdhsa_next_free_sgpr 61
		.amdhsa_reserve_vcc 1
		.amdhsa_reserve_flat_scratch 0
		.amdhsa_float_round_mode_32 0
		.amdhsa_float_round_mode_16_64 0
		.amdhsa_float_denorm_mode_32 3
		.amdhsa_float_denorm_mode_16_64 3
		.amdhsa_dx10_clamp 1
		.amdhsa_ieee_mode 1
		.amdhsa_fp16_overflow 0
		.amdhsa_exception_fp_ieee_invalid_op 0
		.amdhsa_exception_fp_denorm_src 0
		.amdhsa_exception_fp_ieee_div_zero 0
		.amdhsa_exception_fp_ieee_overflow 0
		.amdhsa_exception_fp_ieee_underflow 0
		.amdhsa_exception_fp_ieee_inexact 0
		.amdhsa_exception_int_div_zero 0
	.end_amdhsa_kernel
	.section	.text._Z21sort_keys_values_fullILj256ELj32ELj7ELb0EiN10test_utils16custom_test_typeIsEENS0_7greaterEEvPT3_PT4_T5_,"axG",@progbits,_Z21sort_keys_values_fullILj256ELj32ELj7ELb0EiN10test_utils16custom_test_typeIsEENS0_7greaterEEvPT3_PT4_T5_,comdat
.Lfunc_end33:
	.size	_Z21sort_keys_values_fullILj256ELj32ELj7ELb0EiN10test_utils16custom_test_typeIsEENS0_7greaterEEvPT3_PT4_T5_, .Lfunc_end33-_Z21sort_keys_values_fullILj256ELj32ELj7ELb0EiN10test_utils16custom_test_typeIsEENS0_7greaterEEvPT3_PT4_T5_
                                        ; -- End function
	.set _Z21sort_keys_values_fullILj256ELj32ELj7ELb0EiN10test_utils16custom_test_typeIsEENS0_7greaterEEvPT3_PT4_T5_.num_vgpr, 50
	.set _Z21sort_keys_values_fullILj256ELj32ELj7ELb0EiN10test_utils16custom_test_typeIsEENS0_7greaterEEvPT3_PT4_T5_.num_agpr, 0
	.set _Z21sort_keys_values_fullILj256ELj32ELj7ELb0EiN10test_utils16custom_test_typeIsEENS0_7greaterEEvPT3_PT4_T5_.numbered_sgpr, 32
	.set _Z21sort_keys_values_fullILj256ELj32ELj7ELb0EiN10test_utils16custom_test_typeIsEENS0_7greaterEEvPT3_PT4_T5_.num_named_barrier, 0
	.set _Z21sort_keys_values_fullILj256ELj32ELj7ELb0EiN10test_utils16custom_test_typeIsEENS0_7greaterEEvPT3_PT4_T5_.private_seg_size, 0
	.set _Z21sort_keys_values_fullILj256ELj32ELj7ELb0EiN10test_utils16custom_test_typeIsEENS0_7greaterEEvPT3_PT4_T5_.uses_vcc, 1
	.set _Z21sort_keys_values_fullILj256ELj32ELj7ELb0EiN10test_utils16custom_test_typeIsEENS0_7greaterEEvPT3_PT4_T5_.uses_flat_scratch, 0
	.set _Z21sort_keys_values_fullILj256ELj32ELj7ELb0EiN10test_utils16custom_test_typeIsEENS0_7greaterEEvPT3_PT4_T5_.has_dyn_sized_stack, 0
	.set _Z21sort_keys_values_fullILj256ELj32ELj7ELb0EiN10test_utils16custom_test_typeIsEENS0_7greaterEEvPT3_PT4_T5_.has_recursion, 0
	.set _Z21sort_keys_values_fullILj256ELj32ELj7ELb0EiN10test_utils16custom_test_typeIsEENS0_7greaterEEvPT3_PT4_T5_.has_indirect_call, 0
	.section	.AMDGPU.csdata,"",@progbits
; Kernel info:
; codeLenInByte = 7480
; TotalNumSgprs: 36
; NumVgprs: 50
; ScratchSize: 0
; MemoryBound: 0
; FloatMode: 240
; IeeeMode: 1
; LDSByteSize: 7200 bytes/workgroup (compile time only)
; SGPRBlocks: 8
; VGPRBlocks: 12
; NumSGPRsForWavesPerEU: 65
; NumVGPRsForWavesPerEU: 50
; Occupancy: 4
; WaveLimiterHint : 0
; COMPUTE_PGM_RSRC2:SCRATCH_EN: 0
; COMPUTE_PGM_RSRC2:USER_SGPR: 6
; COMPUTE_PGM_RSRC2:TRAP_HANDLER: 0
; COMPUTE_PGM_RSRC2:TGID_X_EN: 1
; COMPUTE_PGM_RSRC2:TGID_Y_EN: 0
; COMPUTE_PGM_RSRC2:TGID_Z_EN: 0
; COMPUTE_PGM_RSRC2:TIDIG_COMP_CNT: 0
	.section	.text._Z21sort_keys_values_fullILj256ELj8ELj4ELb1ExsN10test_utils4lessEEvPT3_PT4_T5_,"axG",@progbits,_Z21sort_keys_values_fullILj256ELj8ELj4ELb1ExsN10test_utils4lessEEvPT3_PT4_T5_,comdat
	.protected	_Z21sort_keys_values_fullILj256ELj8ELj4ELb1ExsN10test_utils4lessEEvPT3_PT4_T5_ ; -- Begin function _Z21sort_keys_values_fullILj256ELj8ELj4ELb1ExsN10test_utils4lessEEvPT3_PT4_T5_
	.globl	_Z21sort_keys_values_fullILj256ELj8ELj4ELb1ExsN10test_utils4lessEEvPT3_PT4_T5_
	.p2align	8
	.type	_Z21sort_keys_values_fullILj256ELj8ELj4ELb1ExsN10test_utils4lessEEvPT3_PT4_T5_,@function
_Z21sort_keys_values_fullILj256ELj8ELj4ELb1ExsN10test_utils4lessEEvPT3_PT4_T5_: ; @_Z21sort_keys_values_fullILj256ELj8ELj4ELb1ExsN10test_utils4lessEEvPT3_PT4_T5_
; %bb.0:
	s_load_dwordx4 s[8:11], s[4:5], 0x0
	s_lshl_b32 s0, s6, 10
	s_mov_b32 s1, 0
	s_lshl_b64 s[2:3], s[0:1], 3
	v_lshlrev_b32_e32 v9, 5, v0
	s_waitcnt lgkmcnt(0)
	s_add_u32 s2, s8, s2
	s_addc_u32 s3, s9, s3
	global_load_dwordx4 v[5:8], v9, s[2:3]
	global_load_dwordx4 v[1:4], v9, s[2:3] offset:16
	s_lshl_b64 s[0:1], s[0:1], 1
	s_add_u32 s4, s10, s0
	v_lshlrev_b32_e32 v11, 3, v0
	s_addc_u32 s5, s11, s1
	global_load_dwordx2 v[13:14], v11, s[4:5]
	v_mbcnt_lo_u32_b32 v10, -1, 0
	v_lshrrev_b32_e32 v25, 3, v0
	v_mbcnt_hi_u32_b32 v0, -1, v10
	v_lshlrev_b32_e32 v0, 2, v0
	v_and_b32_e32 v42, 28, v0
	v_and_b32_e32 v33, 24, v0
	s_movk_i32 s0, 0x108
	v_lshlrev_b32_e32 v10, 3, v42
	v_or_b32_e32 v44, 4, v33
	v_and_b32_e32 v29, 4, v0
	v_mad_u32_u24 v43, v25, s0, v10
	v_sub_u32_e32 v10, v44, v33
	v_min_i32_e32 v27, v29, v10
	v_mov_b32_e32 v10, s3
	v_add_co_u32_e32 v9, vcc, s2, v9
	v_lshlrev_b32_e32 v12, 3, v33
	v_addc_co_u32_e32 v10, vcc, 0, v10, vcc
	v_mad_u32_u24 v26, v25, s0, v12
	v_mov_b32_e32 v12, s5
	v_add_co_u32_e32 v11, vcc, s4, v11
	v_addc_co_u32_e32 v12, vcc, 0, v12, vcc
	v_cmp_lt_i32_e64 s[0:1], 0, v27
	; wave barrier
	s_waitcnt vmcnt(2)
	v_cmp_gt_i64_e64 s[2:3], v[7:8], v[5:6]
	s_waitcnt vmcnt(1)
	v_cmp_lt_i64_e64 s[4:5], v[3:4], v[1:2]
	v_cmp_lt_i64_e32 vcc, v[7:8], v[5:6]
	v_cndmask_b32_e64 v16, v6, v8, s[2:3]
	v_cndmask_b32_e64 v20, v2, v4, s[4:5]
	;; [unrolled: 1-line block ×4, first 2 shown]
	v_cndmask_b32_e32 v24, v6, v8, vcc
	v_cmp_gt_i64_e64 s[6:7], v[3:4], v[1:2]
	v_cndmask_b32_e32 v23, v5, v7, vcc
	v_cmp_gt_i64_e32 vcc, v[19:20], v[15:16]
	v_cmp_lt_i64_e64 s[2:3], v[19:20], v[15:16]
	v_cndmask_b32_e64 v18, v2, v4, s[6:7]
	v_cndmask_b32_e64 v17, v1, v3, s[6:7]
	v_cndmask_b32_e32 v31, v16, v20, vcc
	v_cndmask_b32_e32 v30, v15, v19, vcc
	v_cndmask_b32_e64 v21, v15, v19, s[2:3]
	v_cndmask_b32_e64 v28, v16, v20, s[2:3]
	v_cmp_lt_i64_e32 vcc, v[19:20], v[23:24]
	v_cmp_lt_i64_e64 s[2:3], v[17:18], v[30:31]
	v_cmp_gt_i64_e64 s[4:5], v[17:18], v[30:31]
	v_cndmask_b32_e32 v32, v24, v28, vcc
	v_cndmask_b32_e64 v22, v31, v18, s[2:3]
	v_cndmask_b32_e64 v35, v31, v18, s[4:5]
	v_cndmask_b32_e32 v31, v23, v21, vcc
	v_cndmask_b32_e32 v24, v28, v24, vcc
	;; [unrolled: 1-line block ×3, first 2 shown]
	v_cndmask_b32_e64 v21, v30, v17, s[2:3]
	v_cmp_lt_i64_e64 s[2:3], v[21:22], v[23:24]
	v_cndmask_b32_e64 v34, v30, v17, s[4:5]
	v_cmp_gt_i64_e64 s[4:5], v[21:22], v[23:24]
	v_cndmask_b32_e64 v37, v24, v22, s[2:3]
	v_cndmask_b32_e64 v36, v23, v21, s[2:3]
	;; [unrolled: 1-line block ×4, first 2 shown]
	ds_write2_b64 v43, v[31:32], v[36:37] offset1:1
	ds_write2_b64 v43, v[38:39], v[34:35] offset0:2 offset1:3
	v_mov_b32_e32 v34, 0
	; wave barrier
	s_and_saveexec_b64 s[2:3], s[0:1]
	s_cbranch_execz .LBB34_4
; %bb.1:
	v_lshl_add_u32 v28, v29, 3, v26
	v_mov_b32_e32 v34, 0
	s_mov_b64 s[4:5], 0
.LBB34_2:                               ; =>This Inner Loop Header: Depth=1
	v_sub_u32_e32 v30, v27, v34
	v_lshrrev_b32_e32 v30, 1, v30
	v_add_u32_e32 v32, v30, v34
	v_not_b32_e32 v31, v32
	v_lshl_add_u32 v30, v32, 3, v26
	v_lshl_add_u32 v35, v31, 3, v28
	ds_read_b64 v[30:31], v30
	ds_read_b64 v[35:36], v35 offset:32
	v_add_u32_e32 v37, 1, v32
	s_waitcnt lgkmcnt(0)
	v_cmp_lt_i64_e64 s[0:1], v[35:36], v[30:31]
	v_cndmask_b32_e64 v27, v27, v32, s[0:1]
	v_cndmask_b32_e64 v34, v37, v34, s[0:1]
	v_cmp_ge_i32_e64 s[0:1], v34, v27
	s_or_b64 s[4:5], s[0:1], s[4:5]
	s_andn2_b64 exec, exec, s[4:5]
	s_cbranch_execnz .LBB34_2
; %bb.3:
	s_or_b64 exec, exec, s[4:5]
.LBB34_4:
	s_or_b64 exec, exec, s[2:3]
	v_mul_u32_u24_e32 v41, 0x108, v25
	v_add_u32_e32 v25, v33, v29
	v_lshl_add_u32 v31, v34, 3, v26
	v_sub_u32_e32 v25, v25, v34
	v_lshl_add_u32 v35, v25, 3, v41
	ds_read_b64 v[25:26], v31
	ds_read_b64 v[27:28], v35 offset:32
	v_add_u32_e32 v29, v44, v29
	v_add_u32_e32 v45, 8, v33
	v_sub_u32_e32 v46, v29, v34
	v_cmp_lt_i32_e64 s[4:5], 3, v34
	s_waitcnt lgkmcnt(0)
	v_cmp_lt_i64_e64 s[2:3], v[27:28], v[25:26]
	v_cmp_gt_i32_e64 s[0:1], v45, v46
	s_or_b64 s[2:3], s[4:5], s[2:3]
	s_and_b64 s[0:1], s[0:1], s[2:3]
	s_xor_b64 s[2:3], s[0:1], -1
                                        ; implicit-def: $vgpr29_vgpr30
	s_and_saveexec_b64 s[4:5], s[2:3]
	s_xor_b64 s[2:3], exec, s[4:5]
; %bb.5:
	ds_read_b64 v[29:30], v31 offset:8
                                        ; implicit-def: $vgpr35
; %bb.6:
	s_or_saveexec_b64 s[2:3], s[2:3]
	v_mov_b32_e32 v32, v28
	v_mov_b32_e32 v31, v27
	s_xor_b64 exec, exec, s[2:3]
	s_cbranch_execz .LBB34_8
; %bb.7:
	ds_read_b64 v[31:32], v35 offset:40
	s_waitcnt lgkmcnt(1)
	v_mov_b32_e32 v30, v26
	v_mov_b32_e32 v29, v25
.LBB34_8:
	s_or_b64 exec, exec, s[2:3]
	v_add_u32_e32 v47, v34, v33
	v_add_u32_e32 v34, 1, v47
	;; [unrolled: 1-line block ×3, first 2 shown]
	v_cndmask_b32_e64 v49, v34, v47, s[0:1]
	s_waitcnt lgkmcnt(0)
	v_cmp_lt_i64_e64 s[4:5], v[31:32], v[29:30]
	v_cndmask_b32_e64 v48, v46, v33, s[0:1]
	v_cmp_ge_i32_e64 s[6:7], v49, v44
	v_cmp_lt_i32_e64 s[2:3], v48, v45
	s_or_b64 s[4:5], s[6:7], s[4:5]
	s_and_b64 s[2:3], s[2:3], s[4:5]
	s_xor_b64 s[4:5], s[2:3], -1
                                        ; implicit-def: $vgpr35_vgpr36
	s_and_saveexec_b64 s[6:7], s[4:5]
	s_xor_b64 s[4:5], exec, s[6:7]
; %bb.9:
	v_lshl_add_u32 v33, v49, 3, v41
	ds_read_b64 v[35:36], v33 offset:8
; %bb.10:
	s_or_saveexec_b64 s[4:5], s[4:5]
	v_mov_b32_e32 v40, v32
	v_mov_b32_e32 v39, v31
	s_xor_b64 exec, exec, s[4:5]
	s_cbranch_execz .LBB34_12
; %bb.11:
	v_lshl_add_u32 v33, v48, 3, v41
	ds_read_b64 v[39:40], v33 offset:8
	s_waitcnt lgkmcnt(1)
	v_mov_b32_e32 v36, v30
	v_mov_b32_e32 v35, v29
.LBB34_12:
	s_or_b64 exec, exec, s[4:5]
	v_add_u32_e32 v34, 1, v49
	v_add_u32_e32 v33, 1, v48
	v_cndmask_b32_e64 v51, v34, v49, s[2:3]
	s_waitcnt lgkmcnt(0)
	v_cmp_lt_i64_e64 s[6:7], v[39:40], v[35:36]
	v_cndmask_b32_e64 v50, v48, v33, s[2:3]
	v_cmp_ge_i32_e64 s[8:9], v51, v44
	v_cmp_lt_i32_e64 s[4:5], v50, v45
	s_or_b64 s[6:7], s[8:9], s[6:7]
	s_and_b64 s[4:5], s[4:5], s[6:7]
	s_xor_b64 s[6:7], s[4:5], -1
                                        ; implicit-def: $vgpr33_vgpr34
	s_and_saveexec_b64 s[8:9], s[6:7]
	s_xor_b64 s[6:7], exec, s[8:9]
; %bb.13:
	v_lshl_add_u32 v33, v51, 3, v41
	ds_read_b64 v[33:34], v33 offset:8
; %bb.14:
	s_or_saveexec_b64 s[6:7], s[6:7]
	v_mov_b32_e32 v37, v39
	v_mov_b32_e32 v38, v40
	s_xor_b64 exec, exec, s[6:7]
	s_cbranch_execz .LBB34_16
; %bb.15:
	s_waitcnt lgkmcnt(0)
	v_lshl_add_u32 v33, v50, 3, v41
	ds_read_b64 v[37:38], v33 offset:8
	v_mov_b32_e32 v33, v35
	v_mov_b32_e32 v34, v36
.LBB34_16:
	s_or_b64 exec, exec, s[6:7]
	v_cndmask_b32_e64 v26, v26, v28, s[0:1]
	v_cndmask_b32_e64 v25, v25, v27, s[0:1]
	;; [unrolled: 1-line block ×3, first 2 shown]
	v_cmp_lt_i64_e64 s[0:1], v[7:8], v[5:6]
	s_waitcnt vmcnt(0)
	v_alignbit_b32 v28, v13, v13, 16
	v_cndmask_b32_e64 v5, v13, v28, s[0:1]
	v_cmp_lt_i64_e64 s[0:1], v[3:4], v[1:2]
	v_alignbit_b32 v6, v14, v14, 16
	v_cndmask_b32_e64 v30, v30, v32, s[2:3]
	v_cndmask_b32_e64 v29, v29, v31, s[2:3]
	;; [unrolled: 1-line block ×4, first 2 shown]
	s_mov_b32 s2, 0x5040100
	v_cmp_lt_i64_e64 s[0:1], v[19:20], v[15:16]
	v_perm_b32 v2, v1, v5, s2
	s_mov_b32 s3, 0x7060302
	v_perm_b32 v3, v1, v5, s3
	v_cndmask_b32_e64 v2, v5, v2, s[0:1]
	v_cndmask_b32_e64 v1, v1, v3, s[0:1]
	v_alignbit_b32 v3, v2, v2, 16
	v_cndmask_b32_e32 v3, v2, v3, vcc
	v_cmp_gt_i64_e32 vcc, v[15:16], v[17:18]
	v_cndmask_b32_e64 v36, v36, v40, s[4:5]
	v_add_u32_e32 v40, 1, v51
	v_alignbit_b32 v2, v1, v1, 16
	v_cndmask_b32_e64 v35, v35, v39, s[4:5]
	v_add_u32_e32 v39, 1, v50
	v_cndmask_b32_e64 v40, v40, v51, s[4:5]
	v_cndmask_b32_e32 v1, v1, v2, vcc
	v_cmp_lt_i64_e32 vcc, v[21:22], v[23:24]
	s_waitcnt lgkmcnt(0)
	v_cmp_lt_i64_e64 s[0:1], v[37:38], v[33:34]
	v_cndmask_b32_e64 v39, v50, v39, s[4:5]
	v_perm_b32 v4, v1, v3, s2
	v_perm_b32 v2, v1, v3, s3
	v_cmp_ge_i32_e64 s[2:3], v40, v44
	v_cndmask_b32_e32 v2, v1, v2, vcc
	v_cndmask_b32_e32 v1, v3, v4, vcc
	v_cmp_lt_i32_e32 vcc, v39, v45
	s_or_b64 s[0:1], s[2:3], s[0:1]
	s_and_b64 vcc, vcc, s[0:1]
	v_mad_i32_i24 v6, v42, -6, v43
	v_cndmask_b32_e64 v50, v51, v50, s[4:5]
	v_cndmask_b32_e32 v5, v40, v39, vcc
	; wave barrier
	ds_write_b64 v6, v[1:2]
	v_lshl_add_u32 v1, v27, 1, v41
	; wave barrier
	v_lshl_add_u32 v2, v31, 1, v41
	v_lshl_add_u32 v6, v50, 1, v41
	;; [unrolled: 1-line block ×3, first 2 shown]
	ds_read_u16 v21, v1
	ds_read_u16 v22, v2
	;; [unrolled: 1-line block ×4, first 2 shown]
	v_and_b32_e32 v13, 16, v0
	v_cndmask_b32_e32 v4, v34, v38, vcc
	v_or_b32_e32 v8, 8, v13
	v_cndmask_b32_e32 v3, v33, v37, vcc
	; wave barrier
	ds_write2_b64 v43, v[25:26], v[29:30] offset1:1
	ds_write2_b64 v43, v[35:36], v[3:4] offset0:2 offset1:3
	v_and_b32_e32 v4, 12, v0
	v_sub_u32_e32 v1, v8, v13
	v_sub_u32_e64 v14, v4, 8 clamp
	v_min_i32_e32 v1, v4, v1
	v_lshl_add_u32 v0, v13, 3, v41
	v_cmp_lt_i32_e32 vcc, v14, v1
	; wave barrier
	s_and_saveexec_b64 s[0:1], vcc
	s_cbranch_execz .LBB34_20
; %bb.17:
	v_lshl_add_u32 v2, v4, 3, v0
	s_mov_b64 s[2:3], 0
.LBB34_18:                              ; =>This Inner Loop Header: Depth=1
	v_sub_u32_e32 v3, v1, v14
	v_lshrrev_b32_e32 v3, 1, v3
	v_add_u32_e32 v3, v3, v14
	v_lshl_add_u32 v5, v3, 3, v0
	v_not_b32_e32 v6, v3
	v_lshl_add_u32 v7, v6, 3, v2
	ds_read_b64 v[5:6], v5
	ds_read_b64 v[15:16], v7 offset:64
	v_add_u32_e32 v7, 1, v3
	s_waitcnt lgkmcnt(0)
	v_cmp_lt_i64_e32 vcc, v[15:16], v[5:6]
	v_cndmask_b32_e32 v1, v1, v3, vcc
	v_cndmask_b32_e32 v14, v7, v14, vcc
	v_cmp_ge_i32_e32 vcc, v14, v1
	s_or_b64 s[2:3], vcc, s[2:3]
	s_andn2_b64 exec, exec, s[2:3]
	s_cbranch_execnz .LBB34_18
; %bb.19:
	s_or_b64 exec, exec, s[2:3]
.LBB34_20:
	s_or_b64 exec, exec, s[0:1]
	v_lshl_add_u32 v6, v14, 3, v0
	v_add_u32_e32 v0, v13, v4
	v_sub_u32_e32 v0, v0, v14
	v_lshl_add_u32 v15, v0, 3, v41
	ds_read_b64 v[0:1], v6
	ds_read_b64 v[2:3], v15 offset:64
	v_add_u32_e32 v4, v8, v4
	v_add_u32_e32 v26, 16, v13
	v_sub_u32_e32 v27, v4, v14
	v_cmp_lt_i32_e64 s[2:3], 7, v14
	s_waitcnt lgkmcnt(0)
	v_cmp_lt_i64_e64 s[0:1], v[2:3], v[0:1]
	v_cmp_gt_i32_e32 vcc, v26, v27
	s_or_b64 s[0:1], s[2:3], s[0:1]
	s_and_b64 vcc, vcc, s[0:1]
	v_mul_i32_i24_e32 v25, -6, v42
	s_xor_b64 s[0:1], vcc, -1
                                        ; implicit-def: $vgpr4_vgpr5
	s_and_saveexec_b64 s[2:3], s[0:1]
	s_xor_b64 s[0:1], exec, s[2:3]
; %bb.21:
	ds_read_b64 v[4:5], v6 offset:8
                                        ; implicit-def: $vgpr15
; %bb.22:
	s_or_saveexec_b64 s[0:1], s[0:1]
	v_mov_b32_e32 v7, v3
	v_mov_b32_e32 v6, v2
	s_xor_b64 exec, exec, s[0:1]
	s_cbranch_execz .LBB34_24
; %bb.23:
	ds_read_b64 v[6:7], v15 offset:72
	s_waitcnt lgkmcnt(1)
	v_mov_b32_e32 v5, v1
	v_mov_b32_e32 v4, v0
.LBB34_24:
	s_or_b64 exec, exec, s[0:1]
	v_add_u32_e32 v28, v14, v13
	v_add_u32_e32 v14, 1, v28
	;; [unrolled: 1-line block ×3, first 2 shown]
	v_cndmask_b32_e32 v30, v14, v28, vcc
	s_waitcnt lgkmcnt(0)
	v_cmp_lt_i64_e64 s[2:3], v[6:7], v[4:5]
	v_cndmask_b32_e32 v29, v27, v13, vcc
	v_cmp_ge_i32_e64 s[4:5], v30, v8
	v_cmp_lt_i32_e64 s[0:1], v29, v26
	s_or_b64 s[2:3], s[4:5], s[2:3]
	s_and_b64 s[0:1], s[0:1], s[2:3]
	s_xor_b64 s[2:3], s[0:1], -1
                                        ; implicit-def: $vgpr13_vgpr14
	s_and_saveexec_b64 s[4:5], s[2:3]
	s_xor_b64 s[2:3], exec, s[4:5]
; %bb.25:
	v_lshl_add_u32 v13, v30, 3, v41
	ds_read_b64 v[13:14], v13 offset:8
; %bb.26:
	s_or_saveexec_b64 s[2:3], s[2:3]
	v_mov_b32_e32 v16, v7
	v_mov_b32_e32 v15, v6
	s_xor_b64 exec, exec, s[2:3]
	s_cbranch_execz .LBB34_28
; %bb.27:
	s_waitcnt lgkmcnt(0)
	v_lshl_add_u32 v13, v29, 3, v41
	ds_read_b64 v[15:16], v13 offset:8
	v_mov_b32_e32 v14, v5
	v_mov_b32_e32 v13, v4
.LBB34_28:
	s_or_b64 exec, exec, s[2:3]
	v_add_u32_e32 v18, 1, v30
	v_add_u32_e32 v17, 1, v29
	v_cndmask_b32_e64 v32, v18, v30, s[0:1]
	s_waitcnt lgkmcnt(0)
	v_cmp_lt_i64_e64 s[4:5], v[15:16], v[13:14]
	v_cndmask_b32_e64 v31, v29, v17, s[0:1]
	v_cmp_ge_i32_e64 s[6:7], v32, v8
	v_cmp_lt_i32_e64 s[2:3], v31, v26
	s_or_b64 s[4:5], s[6:7], s[4:5]
	s_and_b64 s[2:3], s[2:3], s[4:5]
	s_xor_b64 s[4:5], s[2:3], -1
                                        ; implicit-def: $vgpr17_vgpr18
	s_and_saveexec_b64 s[6:7], s[4:5]
	s_xor_b64 s[4:5], exec, s[6:7]
; %bb.29:
	v_lshl_add_u32 v17, v32, 3, v41
	ds_read_b64 v[17:18], v17 offset:8
; %bb.30:
	s_or_saveexec_b64 s[4:5], s[4:5]
	v_mov_b32_e32 v20, v16
	v_mov_b32_e32 v19, v15
	s_xor_b64 exec, exec, s[4:5]
	s_cbranch_execz .LBB34_32
; %bb.31:
	s_waitcnt lgkmcnt(0)
	v_lshl_add_u32 v17, v31, 3, v41
	ds_read_b64 v[19:20], v17 offset:8
	v_mov_b32_e32 v18, v14
	v_mov_b32_e32 v17, v13
.LBB34_32:
	s_or_b64 exec, exec, s[4:5]
	v_cndmask_b32_e64 v14, v14, v16, s[2:3]
	v_add_u32_e32 v16, 1, v32
	v_cndmask_b32_e64 v13, v13, v15, s[2:3]
	v_add_u32_e32 v15, 1, v31
	v_cndmask_b32_e64 v16, v16, v32, s[2:3]
	v_cndmask_b32_e64 v5, v5, v7, s[0:1]
	;; [unrolled: 1-line block ×4, first 2 shown]
	s_waitcnt lgkmcnt(0)
	v_cmp_lt_i64_e64 s[0:1], v[19:20], v[17:18]
	v_cndmask_b32_e64 v15, v31, v15, s[2:3]
	v_cndmask_b32_e64 v31, v32, v31, s[2:3]
	v_cmp_ge_i32_e64 s[2:3], v16, v8
	v_cndmask_b32_e32 v1, v1, v3, vcc
	v_cndmask_b32_e32 v0, v0, v2, vcc
	;; [unrolled: 1-line block ×3, first 2 shown]
	v_cmp_lt_i32_e32 vcc, v15, v26
	s_or_b64 s[0:1], s[2:3], s[0:1]
	s_and_b64 vcc, vcc, s[0:1]
	s_mov_b32 s0, 0x5040100
	v_add_u32_e32 v8, v43, v25
	v_perm_b32 v7, v24, v23, s0
	v_perm_b32 v6, v22, v21, s0
	v_cndmask_b32_e32 v15, v16, v15, vcc
	; wave barrier
	ds_write_b64 v8, v[6:7]
	v_lshl_add_u32 v6, v27, 1, v41
	; wave barrier
	v_lshl_add_u32 v7, v29, 1, v41
	v_lshl_add_u32 v16, v31, 1, v41
	v_lshl_add_u32 v15, v15, 1, v41
	ds_read_u16 v21, v6
	ds_read_u16 v22, v7
	;; [unrolled: 1-line block ×4, first 2 shown]
	v_cndmask_b32_e32 v3, v18, v20, vcc
	v_cndmask_b32_e32 v2, v17, v19, vcc
	; wave barrier
	ds_write2_b64 v43, v[0:1], v[4:5] offset1:1
	ds_write2_b64 v43, v[13:14], v[2:3] offset0:2 offset1:3
	v_sub_u32_e64 v25, v42, 16 clamp
	v_min_u32_e32 v0, 16, v42
	v_cmp_lt_u32_e32 vcc, v25, v0
	; wave barrier
	s_and_saveexec_b64 s[0:1], vcc
	s_cbranch_execz .LBB34_36
; %bb.33:
	s_mov_b64 s[2:3], 0
.LBB34_34:                              ; =>This Inner Loop Header: Depth=1
	v_sub_u32_e32 v1, v0, v25
	v_lshrrev_b32_e32 v1, 1, v1
	v_add_u32_e32 v5, v1, v25
	v_not_b32_e32 v2, v5
	v_lshl_add_u32 v1, v5, 3, v41
	v_lshl_add_u32 v3, v2, 3, v43
	ds_read_b64 v[1:2], v1
	ds_read_b64 v[3:4], v3 offset:128
	v_add_u32_e32 v6, 1, v5
	s_waitcnt lgkmcnt(0)
	v_cmp_lt_i64_e32 vcc, v[3:4], v[1:2]
	v_cndmask_b32_e32 v0, v0, v5, vcc
	v_cndmask_b32_e32 v25, v6, v25, vcc
	v_cmp_ge_i32_e32 vcc, v25, v0
	s_or_b64 s[2:3], vcc, s[2:3]
	s_andn2_b64 exec, exec, s[2:3]
	s_cbranch_execnz .LBB34_34
; %bb.35:
	s_or_b64 exec, exec, s[2:3]
.LBB34_36:
	s_or_b64 exec, exec, s[0:1]
	v_sub_u32_e32 v6, v42, v25
	v_lshl_add_u32 v1, v25, 3, v41
	v_lshl_add_u32 v0, v6, 3, v41
	ds_read_b64 v[2:3], v1
	ds_read_b64 v[4:5], v0 offset:128
	v_add_u32_e32 v26, 16, v6
	v_cmp_lt_i32_e64 s[2:3], 15, v25
	v_cmp_gt_i32_e32 vcc, 32, v26
                                        ; implicit-def: $vgpr6_vgpr7
	s_waitcnt lgkmcnt(0)
	v_cmp_lt_i64_e64 s[0:1], v[4:5], v[2:3]
	s_or_b64 s[0:1], s[2:3], s[0:1]
	s_and_b64 vcc, vcc, s[0:1]
	s_xor_b64 s[0:1], vcc, -1
	s_and_saveexec_b64 s[2:3], s[0:1]
	s_xor_b64 s[0:1], exec, s[2:3]
; %bb.37:
	ds_read_b64 v[6:7], v1 offset:8
                                        ; implicit-def: $vgpr0
; %bb.38:
	s_or_saveexec_b64 s[0:1], s[0:1]
	v_mov_b32_e32 v14, v5
	v_mov_b32_e32 v13, v4
	s_xor_b64 exec, exec, s[0:1]
	s_cbranch_execz .LBB34_40
; %bb.39:
	ds_read_b64 v[13:14], v0 offset:136
	s_waitcnt lgkmcnt(1)
	v_mov_b32_e32 v7, v3
	v_mov_b32_e32 v6, v2
.LBB34_40:
	s_or_b64 exec, exec, s[0:1]
	v_add_u32_e32 v1, 1, v25
	v_add_u32_e32 v0, 1, v26
	v_cndmask_b32_e32 v28, v1, v25, vcc
	s_waitcnt lgkmcnt(0)
	v_cmp_lt_i64_e64 s[2:3], v[13:14], v[6:7]
	v_cndmask_b32_e32 v27, v26, v0, vcc
	v_cmp_lt_i32_e64 s[4:5], 15, v28
	v_cmp_gt_i32_e64 s[0:1], 32, v27
	s_or_b64 s[2:3], s[4:5], s[2:3]
	s_and_b64 s[0:1], s[0:1], s[2:3]
	s_xor_b64 s[2:3], s[0:1], -1
                                        ; implicit-def: $vgpr19_vgpr20
	s_and_saveexec_b64 s[4:5], s[2:3]
	s_xor_b64 s[2:3], exec, s[4:5]
; %bb.41:
	v_lshl_add_u32 v0, v28, 3, v41
	ds_read_b64 v[19:20], v0 offset:8
; %bb.42:
	s_or_saveexec_b64 s[2:3], s[2:3]
	v_mov_b32_e32 v16, v14
	v_mov_b32_e32 v15, v13
	s_xor_b64 exec, exec, s[2:3]
	s_cbranch_execz .LBB34_44
; %bb.43:
	v_lshl_add_u32 v0, v27, 3, v41
	ds_read_b64 v[15:16], v0 offset:8
	s_waitcnt lgkmcnt(1)
	v_mov_b32_e32 v20, v7
	v_mov_b32_e32 v19, v6
.LBB34_44:
	s_or_b64 exec, exec, s[2:3]
	v_add_u32_e32 v1, 1, v28
	v_add_u32_e32 v0, 1, v27
	v_cndmask_b32_e64 v32, v1, v28, s[0:1]
	s_waitcnt lgkmcnt(0)
	v_cmp_ge_i64_e64 s[4:5], v[15:16], v[19:20]
	v_cndmask_b32_e64 v29, v27, v0, s[0:1]
	v_cmp_gt_i32_e64 s[6:7], 16, v32
	v_cmp_lt_i32_e64 s[2:3], 31, v29
	s_and_b64 s[4:5], s[6:7], s[4:5]
	s_or_b64 s[2:3], s[2:3], s[4:5]
                                        ; implicit-def: $vgpr17_vgpr18
                                        ; implicit-def: $vgpr30
	s_and_saveexec_b64 s[4:5], s[2:3]
	s_xor_b64 s[2:3], exec, s[4:5]
; %bb.45:
	v_lshl_add_u32 v0, v32, 3, v41
	ds_read_b64 v[17:18], v0 offset:8
	v_add_u32_e32 v30, 1, v32
; %bb.46:
	s_or_saveexec_b64 s[2:3], s[2:3]
	v_mov_b32_e32 v0, v19
	v_mov_b32_e32 v1, v20
	;; [unrolled: 1-line block ×3, first 2 shown]
	s_xor_b64 exec, exec, s[2:3]
	s_cbranch_execz .LBB34_48
; %bb.47:
	v_lshl_add_u32 v0, v29, 3, v41
	ds_read_b64 v[33:34], v0 offset:8
	s_waitcnt lgkmcnt(1)
	v_add_u32_e32 v17, 1, v29
	v_mov_b32_e32 v0, v15
	v_mov_b32_e32 v1, v16
	;; [unrolled: 1-line block ×5, first 2 shown]
	s_waitcnt lgkmcnt(0)
	v_mov_b32_e32 v15, v33
	v_mov_b32_e32 v30, v32
	;; [unrolled: 1-line block ×4, first 2 shown]
.LBB34_48:
	s_or_b64 exec, exec, s[2:3]
	s_waitcnt lgkmcnt(0)
	v_cmp_lt_i64_e64 s[2:3], v[15:16], v[17:18]
	v_cmp_lt_i32_e64 s[4:5], 15, v30
	v_cndmask_b32_e64 v7, v7, v14, s[0:1]
	v_cndmask_b32_e64 v6, v6, v13, s[0:1]
	;; [unrolled: 1-line block ×3, first 2 shown]
	v_cmp_gt_i32_e64 s[0:1], 32, v29
	s_or_b64 s[2:3], s[4:5], s[2:3]
	s_and_b64 s[0:1], s[0:1], s[2:3]
	s_mov_b32 s2, 0x5040100
	v_cndmask_b32_e32 v5, v3, v5, vcc
	v_cndmask_b32_e32 v20, v25, v26, vcc
	v_cndmask_b32_e64 v3, v18, v16, s[0:1]
	v_cndmask_b32_e64 v16, v30, v29, s[0:1]
	v_perm_b32 v14, v24, v23, s2
	v_perm_b32 v13, v22, v21, s2
	; wave barrier
	ds_write_b64 v8, v[13:14]
	v_lshl_add_u32 v8, v20, 1, v41
	v_lshl_add_u32 v13, v19, 1, v41
	;; [unrolled: 1-line block ×4, first 2 shown]
	; wave barrier
	ds_read_u16 v8, v8
	ds_read_u16 v13, v13
	;; [unrolled: 1-line block ×4, first 2 shown]
	v_cndmask_b32_e32 v4, v2, v4, vcc
	v_cndmask_b32_e64 v2, v17, v15, s[0:1]
	global_store_dwordx4 v[9:10], v[4:7], off
	global_store_dwordx4 v[9:10], v[0:3], off offset:16
	s_waitcnt lgkmcnt(0)
	v_perm_b32 v1, v16, v14, s2
	v_perm_b32 v0, v13, v8, s2
	global_store_dwordx2 v[11:12], v[0:1], off
	s_endpgm
	.section	.rodata,"a",@progbits
	.p2align	6, 0x0
	.amdhsa_kernel _Z21sort_keys_values_fullILj256ELj8ELj4ELb1ExsN10test_utils4lessEEvPT3_PT4_T5_
		.amdhsa_group_segment_fixed_size 8448
		.amdhsa_private_segment_fixed_size 0
		.amdhsa_kernarg_size 20
		.amdhsa_user_sgpr_count 6
		.amdhsa_user_sgpr_private_segment_buffer 1
		.amdhsa_user_sgpr_dispatch_ptr 0
		.amdhsa_user_sgpr_queue_ptr 0
		.amdhsa_user_sgpr_kernarg_segment_ptr 1
		.amdhsa_user_sgpr_dispatch_id 0
		.amdhsa_user_sgpr_flat_scratch_init 0
		.amdhsa_user_sgpr_private_segment_size 0
		.amdhsa_uses_dynamic_stack 0
		.amdhsa_system_sgpr_private_segment_wavefront_offset 0
		.amdhsa_system_sgpr_workgroup_id_x 1
		.amdhsa_system_sgpr_workgroup_id_y 0
		.amdhsa_system_sgpr_workgroup_id_z 0
		.amdhsa_system_sgpr_workgroup_info 0
		.amdhsa_system_vgpr_workitem_id 0
		.amdhsa_next_free_vgpr 52
		.amdhsa_next_free_sgpr 77
		.amdhsa_reserve_vcc 1
		.amdhsa_reserve_flat_scratch 0
		.amdhsa_float_round_mode_32 0
		.amdhsa_float_round_mode_16_64 0
		.amdhsa_float_denorm_mode_32 3
		.amdhsa_float_denorm_mode_16_64 3
		.amdhsa_dx10_clamp 1
		.amdhsa_ieee_mode 1
		.amdhsa_fp16_overflow 0
		.amdhsa_exception_fp_ieee_invalid_op 0
		.amdhsa_exception_fp_denorm_src 0
		.amdhsa_exception_fp_ieee_div_zero 0
		.amdhsa_exception_fp_ieee_overflow 0
		.amdhsa_exception_fp_ieee_underflow 0
		.amdhsa_exception_fp_ieee_inexact 0
		.amdhsa_exception_int_div_zero 0
	.end_amdhsa_kernel
	.section	.text._Z21sort_keys_values_fullILj256ELj8ELj4ELb1ExsN10test_utils4lessEEvPT3_PT4_T5_,"axG",@progbits,_Z21sort_keys_values_fullILj256ELj8ELj4ELb1ExsN10test_utils4lessEEvPT3_PT4_T5_,comdat
.Lfunc_end34:
	.size	_Z21sort_keys_values_fullILj256ELj8ELj4ELb1ExsN10test_utils4lessEEvPT3_PT4_T5_, .Lfunc_end34-_Z21sort_keys_values_fullILj256ELj8ELj4ELb1ExsN10test_utils4lessEEvPT3_PT4_T5_
                                        ; -- End function
	.set _Z21sort_keys_values_fullILj256ELj8ELj4ELb1ExsN10test_utils4lessEEvPT3_PT4_T5_.num_vgpr, 52
	.set _Z21sort_keys_values_fullILj256ELj8ELj4ELb1ExsN10test_utils4lessEEvPT3_PT4_T5_.num_agpr, 0
	.set _Z21sort_keys_values_fullILj256ELj8ELj4ELb1ExsN10test_utils4lessEEvPT3_PT4_T5_.numbered_sgpr, 12
	.set _Z21sort_keys_values_fullILj256ELj8ELj4ELb1ExsN10test_utils4lessEEvPT3_PT4_T5_.num_named_barrier, 0
	.set _Z21sort_keys_values_fullILj256ELj8ELj4ELb1ExsN10test_utils4lessEEvPT3_PT4_T5_.private_seg_size, 0
	.set _Z21sort_keys_values_fullILj256ELj8ELj4ELb1ExsN10test_utils4lessEEvPT3_PT4_T5_.uses_vcc, 1
	.set _Z21sort_keys_values_fullILj256ELj8ELj4ELb1ExsN10test_utils4lessEEvPT3_PT4_T5_.uses_flat_scratch, 0
	.set _Z21sort_keys_values_fullILj256ELj8ELj4ELb1ExsN10test_utils4lessEEvPT3_PT4_T5_.has_dyn_sized_stack, 0
	.set _Z21sort_keys_values_fullILj256ELj8ELj4ELb1ExsN10test_utils4lessEEvPT3_PT4_T5_.has_recursion, 0
	.set _Z21sort_keys_values_fullILj256ELj8ELj4ELb1ExsN10test_utils4lessEEvPT3_PT4_T5_.has_indirect_call, 0
	.section	.AMDGPU.csdata,"",@progbits
; Kernel info:
; codeLenInByte = 3056
; TotalNumSgprs: 16
; NumVgprs: 52
; ScratchSize: 0
; MemoryBound: 0
; FloatMode: 240
; IeeeMode: 1
; LDSByteSize: 8448 bytes/workgroup (compile time only)
; SGPRBlocks: 10
; VGPRBlocks: 12
; NumSGPRsForWavesPerEU: 81
; NumVGPRsForWavesPerEU: 52
; Occupancy: 4
; WaveLimiterHint : 0
; COMPUTE_PGM_RSRC2:SCRATCH_EN: 0
; COMPUTE_PGM_RSRC2:USER_SGPR: 6
; COMPUTE_PGM_RSRC2:TRAP_HANDLER: 0
; COMPUTE_PGM_RSRC2:TGID_X_EN: 1
; COMPUTE_PGM_RSRC2:TGID_Y_EN: 0
; COMPUTE_PGM_RSRC2:TGID_Z_EN: 0
; COMPUTE_PGM_RSRC2:TIDIG_COMP_CNT: 0
	.section	.text._Z21sort_keys_values_fullILj256ELj32ELj8ELb0EN10test_utils16custom_test_typeIfEEiNS0_4lessEEvPT3_PT4_T5_,"axG",@progbits,_Z21sort_keys_values_fullILj256ELj32ELj8ELb0EN10test_utils16custom_test_typeIfEEiNS0_4lessEEvPT3_PT4_T5_,comdat
	.protected	_Z21sort_keys_values_fullILj256ELj32ELj8ELb0EN10test_utils16custom_test_typeIfEEiNS0_4lessEEvPT3_PT4_T5_ ; -- Begin function _Z21sort_keys_values_fullILj256ELj32ELj8ELb0EN10test_utils16custom_test_typeIfEEiNS0_4lessEEvPT3_PT4_T5_
	.globl	_Z21sort_keys_values_fullILj256ELj32ELj8ELb0EN10test_utils16custom_test_typeIfEEiNS0_4lessEEvPT3_PT4_T5_
	.p2align	8
	.type	_Z21sort_keys_values_fullILj256ELj32ELj8ELb0EN10test_utils16custom_test_typeIfEEiNS0_4lessEEvPT3_PT4_T5_,@function
_Z21sort_keys_values_fullILj256ELj32ELj8ELb0EN10test_utils16custom_test_typeIfEEiNS0_4lessEEvPT3_PT4_T5_: ; @_Z21sort_keys_values_fullILj256ELj32ELj8ELb0EN10test_utils16custom_test_typeIfEEiNS0_4lessEEvPT3_PT4_T5_
; %bb.0:
	s_load_dwordx4 s[8:11], s[4:5], 0x0
	s_lshl_b32 s0, s6, 11
	s_mov_b32 s1, 0
	s_lshl_b64 s[2:3], s[0:1], 3
	v_lshlrev_b32_e32 v29, 6, v0
	s_waitcnt lgkmcnt(0)
	s_add_u32 s2, s8, s2
	s_addc_u32 s3, s9, s3
	s_lshl_b64 s[0:1], s[0:1], 2
	s_add_u32 s4, s10, s0
	global_load_dwordx4 v[13:16], v29, s[2:3] offset:48
	global_load_dwordx4 v[17:20], v29, s[2:3] offset:32
	global_load_dwordx4 v[21:24], v29, s[2:3] offset:16
	global_load_dwordx4 v[9:12], v29, s[2:3]
	s_addc_u32 s5, s11, s1
	v_lshlrev_b32_e32 v30, 5, v0
	global_load_dwordx4 v[1:4], v30, s[4:5] offset:16
	global_load_dwordx4 v[5:8], v30, s[4:5]
	s_waitcnt vmcnt(2)
	v_cmp_lt_f32_e64 s[6:7], v11, v9
	v_cmp_nlt_f32_e32 vcc, v11, v9
	s_and_saveexec_b64 s[8:9], vcc
; %bb.1:
	v_cmp_eq_f32_e32 vcc, v11, v9
	v_cmp_lt_f32_e64 s[0:1], v12, v10
	s_and_b64 s[0:1], vcc, s[0:1]
	s_andn2_b64 s[6:7], s[6:7], exec
	s_and_b64 s[0:1], s[0:1], exec
	s_or_b64 s[6:7], s[6:7], s[0:1]
; %bb.2:
	s_or_b64 exec, exec, s[8:9]
	v_mov_b32_e32 v25, v12
	v_mov_b32_e32 v26, v11
	s_waitcnt vmcnt(0)
	v_mov_b32_e32 v27, v6
	s_and_saveexec_b64 s[0:1], s[6:7]
; %bb.3:
	v_mov_b32_e32 v25, v10
	v_mov_b32_e32 v26, v9
	v_mov_b32_e32 v10, v12
	v_mov_b32_e32 v9, v11
	v_mov_b32_e32 v27, v5
	v_mov_b32_e32 v5, v6
; %bb.4:
	s_or_b64 exec, exec, s[0:1]
	v_cmp_lt_f32_e64 s[6:7], v23, v21
	v_cmp_nlt_f32_e32 vcc, v23, v21
	s_and_saveexec_b64 s[8:9], vcc
; %bb.5:
	v_cmp_eq_f32_e32 vcc, v23, v21
	v_cmp_lt_f32_e64 s[0:1], v24, v22
	s_and_b64 s[0:1], vcc, s[0:1]
	s_andn2_b64 s[6:7], s[6:7], exec
	s_and_b64 s[0:1], s[0:1], exec
	s_or_b64 s[6:7], s[6:7], s[0:1]
; %bb.6:
	s_or_b64 exec, exec, s[8:9]
	v_mov_b32_e32 v6, v24
	v_mov_b32_e32 v11, v23
	v_mov_b32_e32 v31, v8
	s_and_saveexec_b64 s[0:1], s[6:7]
; %bb.7:
	v_mov_b32_e32 v6, v22
	v_mov_b32_e32 v11, v21
	v_mov_b32_e32 v22, v24
	v_mov_b32_e32 v21, v23
	v_mov_b32_e32 v31, v7
	v_mov_b32_e32 v7, v8
; %bb.8:
	s_or_b64 exec, exec, s[0:1]
	v_cmp_lt_f32_e64 s[6:7], v19, v17
	v_cmp_nlt_f32_e32 vcc, v19, v17
	s_and_saveexec_b64 s[8:9], vcc
; %bb.9:
	v_cmp_eq_f32_e32 vcc, v19, v17
	v_cmp_lt_f32_e64 s[0:1], v20, v18
	s_and_b64 s[0:1], vcc, s[0:1]
	s_andn2_b64 s[6:7], s[6:7], exec
	s_and_b64 s[0:1], s[0:1], exec
	s_or_b64 s[6:7], s[6:7], s[0:1]
; %bb.10:
	s_or_b64 exec, exec, s[8:9]
	v_mov_b32_e32 v8, v20
	v_mov_b32_e32 v12, v19
	;; [unrolled: 25-line block ×3, first 2 shown]
	v_mov_b32_e32 v33, v3
	s_and_saveexec_b64 s[0:1], s[6:7]
; %bb.15:
	v_mov_b32_e32 v19, v14
	v_mov_b32_e32 v20, v13
	;; [unrolled: 1-line block ×6, first 2 shown]
; %bb.16:
	s_or_b64 exec, exec, s[0:1]
	v_cmp_nlt_f32_e32 vcc, v21, v26
	s_mov_b64 s[0:1], -1
	s_and_saveexec_b64 s[6:7], vcc
	s_xor_b64 s[6:7], exec, s[6:7]
; %bb.17:
	v_cmp_eq_f32_e32 vcc, v21, v26
	v_cmp_lt_f32_e64 s[0:1], v22, v25
	s_and_b64 s[0:1], vcc, s[0:1]
	s_orn2_b64 s[0:1], s[0:1], exec
; %bb.18:
	s_or_b64 exec, exec, s[6:7]
	v_mov_b32_e32 v15, v22
	v_mov_b32_e32 v24, v21
	v_mov_b32_e32 v28, v7
	s_and_saveexec_b64 s[6:7], s[0:1]
; %bb.19:
	v_mov_b32_e32 v15, v25
	v_mov_b32_e32 v24, v26
	v_mov_b32_e32 v25, v22
	v_mov_b32_e32 v26, v21
	v_mov_b32_e32 v28, v27
	v_mov_b32_e32 v27, v7
; %bb.20:
	s_or_b64 exec, exec, s[6:7]
	v_cmp_lt_f32_e64 s[6:7], v17, v11
	v_cmp_nlt_f32_e32 vcc, v17, v11
	s_and_saveexec_b64 s[8:9], vcc
; %bb.21:
	v_cmp_eq_f32_e32 vcc, v17, v11
	v_cmp_lt_f32_e64 s[0:1], v18, v6
	s_and_b64 s[0:1], vcc, s[0:1]
	s_andn2_b64 s[6:7], s[6:7], exec
	s_and_b64 s[0:1], s[0:1], exec
	s_or_b64 s[6:7], s[6:7], s[0:1]
; %bb.22:
	s_or_b64 exec, exec, s[8:9]
	v_mov_b32_e32 v7, v18
	v_mov_b32_e32 v21, v17
	v_mov_b32_e32 v1, v31
	s_and_saveexec_b64 s[0:1], s[6:7]
; %bb.23:
	v_mov_b32_e32 v7, v6
	v_mov_b32_e32 v21, v11
	v_mov_b32_e32 v6, v18
	v_mov_b32_e32 v11, v17
	v_mov_b32_e32 v1, v23
	v_mov_b32_e32 v23, v31
; %bb.24:
	s_or_b64 exec, exec, s[0:1]
	v_cmp_lt_f32_e64 s[6:7], v13, v12
	v_cmp_nlt_f32_e32 vcc, v13, v12
	s_and_saveexec_b64 s[8:9], vcc
; %bb.25:
	v_cmp_eq_f32_e32 vcc, v13, v12
	v_cmp_lt_f32_e64 s[0:1], v14, v8
	s_and_b64 s[0:1], vcc, s[0:1]
	s_andn2_b64 s[6:7], s[6:7], exec
	s_and_b64 s[0:1], s[0:1], exec
	s_or_b64 s[6:7], s[6:7], s[0:1]
	;; [unrolled: 25-line block ×23, first 2 shown]
; %bb.110:
	s_or_b64 exec, exec, s[8:9]
	v_mov_b32_e32 v32, s3
	v_mov_b32_e32 v2, s5
	;; [unrolled: 1-line block ×5, first 2 shown]
	s_and_saveexec_b64 s[0:1], s[6:7]
; %bb.111:
	v_mov_b32_e32 v28, v20
	v_mov_b32_e32 v27, v19
	;; [unrolled: 1-line block ×6, first 2 shown]
; %bb.112:
	s_or_b64 exec, exec, s[0:1]
	v_add_co_u32_e32 v7, vcc, s2, v29
	v_addc_co_u32_e32 v8, vcc, 0, v32, vcc
	v_add_co_u32_e32 v1, vcc, s4, v30
	v_mbcnt_lo_u32_b32 v30, -1, 0
	v_mbcnt_hi_u32_b32 v30, -1, v30
	v_lshlrev_b32_e32 v48, 3, v30
	v_and_b32_e32 v45, 0xf8, v48
	v_lshrrev_b32_e32 v0, 5, v0
	s_movk_i32 s0, 0x808
	v_lshlrev_b32_e32 v30, 3, v45
	v_mad_u32_u24 v46, v0, s0, v30
	; wave barrier
	ds_write2_b64 v46, v[9:10], v[15:16] offset1:1
	ds_write2_b64 v46, v[23:24], v[17:18] offset0:2 offset1:3
	ds_write2_b64 v46, v[25:26], v[19:20] offset0:4 offset1:5
	;; [unrolled: 1-line block ×3, first 2 shown]
	v_and_b32_e32 v21, 0xf0, v48
	v_or_b32_e32 v47, 8, v21
	v_and_b32_e32 v17, 8, v48
	v_sub_u32_e32 v10, v47, v21
	v_addc_co_u32_e32 v2, vcc, 0, v2, vcc
	v_lshlrev_b32_e32 v9, 3, v21
	v_min_i32_e32 v10, v17, v10
	v_mov_b32_e32 v29, 0
	v_mad_u32_u24 v9, v0, s0, v9
	v_cmp_lt_i32_e32 vcc, 0, v10
	; wave barrier
	s_and_saveexec_b64 s[0:1], vcc
	s_cbranch_execz .LBB35_120
; %bb.113:
	v_lshl_add_u32 v15, v17, 3, v9
	v_mov_b32_e32 v29, 0
	s_mov_b64 s[2:3], 0
                                        ; implicit-def: $sgpr4_sgpr5
	s_branch .LBB35_116
.LBB35_114:                             ;   in Loop: Header=BB35_116 Depth=1
	s_or_b64 exec, exec, s[10:11]
	s_andn2_b64 s[4:5], s[4:5], exec
	s_and_b64 s[8:9], s[8:9], exec
	s_or_b64 s[4:5], s[4:5], s[8:9]
.LBB35_115:                             ;   in Loop: Header=BB35_116 Depth=1
	s_or_b64 exec, exec, s[6:7]
	v_add_u32_e32 v18, 1, v16
	v_cndmask_b32_e64 v10, v10, v16, s[4:5]
	v_cndmask_b32_e64 v29, v18, v29, s[4:5]
	v_cmp_ge_i32_e32 vcc, v29, v10
	s_or_b64 s[2:3], vcc, s[2:3]
	s_andn2_b64 exec, exec, s[2:3]
	s_cbranch_execz .LBB35_119
.LBB35_116:                             ; =>This Inner Loop Header: Depth=1
	v_sub_u32_e32 v16, v10, v29
	v_lshrrev_b32_e32 v16, 1, v16
	v_add_u32_e32 v16, v16, v29
	v_lshl_add_u32 v18, v16, 3, v9
	v_not_b32_e32 v19, v16
	v_lshl_add_u32 v19, v19, 3, v15
	ds_read_b32 v20, v18
	ds_read_b32 v22, v19 offset:64
	s_or_b64 s[4:5], s[4:5], exec
	s_waitcnt lgkmcnt(0)
	v_cmp_nlt_f32_e32 vcc, v22, v20
	s_and_saveexec_b64 s[6:7], vcc
	s_cbranch_execz .LBB35_115
; %bb.117:                              ;   in Loop: Header=BB35_116 Depth=1
	v_cmp_eq_f32_e32 vcc, v22, v20
	s_mov_b64 s[8:9], 0
	s_and_saveexec_b64 s[10:11], vcc
	s_cbranch_execz .LBB35_114
; %bb.118:                              ;   in Loop: Header=BB35_116 Depth=1
	ds_read_b32 v19, v19 offset:68
	ds_read_b32 v18, v18 offset:4
	s_waitcnt lgkmcnt(0)
	v_cmp_lt_f32_e32 vcc, v19, v18
	s_and_b64 s[8:9], vcc, exec
	s_branch .LBB35_114
.LBB35_119:
	s_or_b64 exec, exec, s[2:3]
.LBB35_120:
	s_or_b64 exec, exec, s[0:1]
	v_lshl_add_u32 v20, v29, 3, v9
	v_add_u32_e32 v9, v21, v17
	v_mul_u32_u24_e32 v0, 0x808, v0
	v_sub_u32_e32 v9, v9, v29
	v_lshl_add_u32 v22, v9, 3, v0
	ds_read_b64 v[9:10], v22 offset:64
	ds_read_b64 v[15:16], v20
	v_add_u32_e32 v17, v47, v17
	v_add_u32_e32 v50, 16, v21
	v_sub_u32_e32 v49, v17, v29
	s_waitcnt lgkmcnt(1)
	v_mov_b32_e32 v17, v9
	v_mov_b32_e32 v18, v10
	v_cmp_gt_i32_e32 vcc, v50, v49
	s_mov_b64 s[2:3], 0
	s_and_saveexec_b64 s[4:5], vcc
	s_cbranch_execz .LBB35_126
; %bb.121:
	v_cmp_gt_i32_e32 vcc, 8, v29
	s_waitcnt lgkmcnt(0)
	v_cmp_nlt_f32_e64 s[0:1], v9, v15
	s_and_b64 s[6:7], vcc, s[0:1]
	s_mov_b64 s[2:3], -1
	s_and_saveexec_b64 s[0:1], s[6:7]
	s_cbranch_execz .LBB35_125
; %bb.122:
	v_cmp_eq_f32_e32 vcc, v9, v15
	s_mov_b64 s[2:3], 0
	s_and_saveexec_b64 s[6:7], vcc
; %bb.123:
	v_cmp_lt_f32_e32 vcc, v10, v16
	s_and_b64 s[2:3], vcc, exec
; %bb.124:
	s_or_b64 exec, exec, s[6:7]
	s_orn2_b64 s[2:3], s[2:3], exec
.LBB35_125:
	s_or_b64 exec, exec, s[0:1]
	s_and_b64 s[2:3], s[2:3], exec
.LBB35_126:
	s_or_b64 exec, exec, s[4:5]
	s_xor_b64 s[0:1], s[2:3], -1
                                        ; implicit-def: $vgpr19
	s_and_saveexec_b64 s[4:5], s[0:1]
	s_xor_b64 s[0:1], exec, s[4:5]
; %bb.127:
	ds_read_b64 v[19:20], v20 offset:8
                                        ; implicit-def: $vgpr22
; %bb.128:
	s_andn2_saveexec_b64 s[0:1], s[0:1]
	s_cbranch_execz .LBB35_130
; %bb.129:
	ds_read_b64 v[17:18], v22 offset:72
	s_waitcnt lgkmcnt(1)
	v_mov_b32_e32 v20, v16
	v_mov_b32_e32 v19, v15
.LBB35_130:
	s_or_b64 exec, exec, s[0:1]
	v_add_u32_e32 v51, v29, v21
	v_add_u32_e32 v21, 1, v49
	;; [unrolled: 1-line block ×3, first 2 shown]
	v_cndmask_b32_e64 v52, v49, v21, s[2:3]
	v_cndmask_b32_e64 v53, v22, v51, s[2:3]
	v_cmp_lt_i32_e32 vcc, v52, v50
	s_mov_b64 s[4:5], 0
	s_and_saveexec_b64 s[6:7], vcc
	s_cbranch_execz .LBB35_136
; %bb.131:
	v_cmp_lt_i32_e32 vcc, v53, v47
	s_waitcnt lgkmcnt(0)
	v_cmp_nlt_f32_e64 s[0:1], v17, v19
	s_and_b64 s[8:9], vcc, s[0:1]
	s_mov_b64 s[4:5], -1
	s_and_saveexec_b64 s[0:1], s[8:9]
	s_cbranch_execz .LBB35_135
; %bb.132:
	v_cmp_eq_f32_e32 vcc, v17, v19
	s_mov_b64 s[4:5], 0
	s_and_saveexec_b64 s[8:9], vcc
; %bb.133:
	v_cmp_lt_f32_e32 vcc, v18, v20
	s_and_b64 s[4:5], vcc, exec
; %bb.134:
	s_or_b64 exec, exec, s[8:9]
	s_orn2_b64 s[4:5], s[4:5], exec
.LBB35_135:
	s_or_b64 exec, exec, s[0:1]
	s_and_b64 s[4:5], s[4:5], exec
.LBB35_136:
	s_or_b64 exec, exec, s[6:7]
	s_xor_b64 s[0:1], s[4:5], -1
                                        ; implicit-def: $vgpr21
	s_and_saveexec_b64 s[6:7], s[0:1]
	s_xor_b64 s[0:1], exec, s[6:7]
; %bb.137:
	v_lshl_add_u32 v21, v53, 3, v0
	ds_read_b64 v[21:22], v21 offset:8
; %bb.138:
	s_or_saveexec_b64 s[0:1], s[0:1]
	s_waitcnt lgkmcnt(0)
	v_mov_b32_e32 v23, v17
	v_mov_b32_e32 v24, v18
	s_xor_b64 exec, exec, s[0:1]
; %bb.139:
	v_lshl_add_u32 v21, v52, 3, v0
	ds_read_b64 v[23:24], v21 offset:8
	v_mov_b32_e32 v22, v20
	v_mov_b32_e32 v21, v19
; %bb.140:
	s_or_b64 exec, exec, s[0:1]
	v_add_u32_e32 v25, 1, v52
	v_add_u32_e32 v26, 1, v53
	v_cndmask_b32_e64 v54, v52, v25, s[4:5]
	v_cndmask_b32_e64 v55, v26, v53, s[4:5]
	v_cmp_lt_i32_e32 vcc, v54, v50
	s_mov_b64 s[6:7], 0
	s_and_saveexec_b64 s[8:9], vcc
	s_cbranch_execz .LBB35_146
; %bb.141:
	v_cmp_lt_i32_e32 vcc, v55, v47
	s_waitcnt lgkmcnt(0)
	v_cmp_nlt_f32_e64 s[0:1], v23, v21
	s_and_b64 s[10:11], vcc, s[0:1]
	s_mov_b64 s[6:7], -1
	s_and_saveexec_b64 s[0:1], s[10:11]
	s_cbranch_execz .LBB35_145
; %bb.142:
	v_cmp_eq_f32_e32 vcc, v23, v21
	s_mov_b64 s[6:7], 0
	s_and_saveexec_b64 s[10:11], vcc
; %bb.143:
	v_cmp_lt_f32_e32 vcc, v24, v22
	s_and_b64 s[6:7], vcc, exec
; %bb.144:
	s_or_b64 exec, exec, s[10:11]
	s_orn2_b64 s[6:7], s[6:7], exec
.LBB35_145:
	s_or_b64 exec, exec, s[0:1]
	s_and_b64 s[6:7], s[6:7], exec
.LBB35_146:
	s_or_b64 exec, exec, s[8:9]
	s_xor_b64 s[0:1], s[6:7], -1
                                        ; implicit-def: $vgpr25
	s_and_saveexec_b64 s[8:9], s[0:1]
	s_xor_b64 s[0:1], exec, s[8:9]
; %bb.147:
	v_lshl_add_u32 v25, v55, 3, v0
	ds_read_b64 v[25:26], v25 offset:8
; %bb.148:
	s_or_saveexec_b64 s[0:1], s[0:1]
	s_waitcnt lgkmcnt(0)
	v_mov_b32_e32 v27, v23
	v_mov_b32_e32 v28, v24
	s_xor_b64 exec, exec, s[0:1]
; %bb.149:
	v_lshl_add_u32 v25, v54, 3, v0
	ds_read_b64 v[27:28], v25 offset:8
	v_mov_b32_e32 v26, v22
	v_mov_b32_e32 v25, v21
; %bb.150:
	s_or_b64 exec, exec, s[0:1]
	v_add_u32_e32 v29, 1, v54
	v_add_u32_e32 v30, 1, v55
	v_cndmask_b32_e64 v56, v54, v29, s[6:7]
	v_cndmask_b32_e64 v57, v30, v55, s[6:7]
	v_cmp_lt_i32_e32 vcc, v56, v50
	s_mov_b64 s[8:9], 0
	s_and_saveexec_b64 s[10:11], vcc
	s_cbranch_execz .LBB35_156
; %bb.151:
	v_cmp_lt_i32_e32 vcc, v57, v47
	s_waitcnt lgkmcnt(0)
	v_cmp_nlt_f32_e64 s[0:1], v27, v25
	s_and_b64 s[12:13], vcc, s[0:1]
	s_mov_b64 s[8:9], -1
	s_and_saveexec_b64 s[0:1], s[12:13]
	s_cbranch_execz .LBB35_155
; %bb.152:
	v_cmp_eq_f32_e32 vcc, v27, v25
	s_mov_b64 s[8:9], 0
	s_and_saveexec_b64 s[12:13], vcc
; %bb.153:
	v_cmp_lt_f32_e32 vcc, v28, v26
	s_and_b64 s[8:9], vcc, exec
; %bb.154:
	s_or_b64 exec, exec, s[12:13]
	s_orn2_b64 s[8:9], s[8:9], exec
.LBB35_155:
	s_or_b64 exec, exec, s[0:1]
	s_and_b64 s[8:9], s[8:9], exec
.LBB35_156:
	s_or_b64 exec, exec, s[10:11]
	s_xor_b64 s[0:1], s[8:9], -1
                                        ; implicit-def: $vgpr29
	s_and_saveexec_b64 s[10:11], s[0:1]
	s_xor_b64 s[0:1], exec, s[10:11]
; %bb.157:
	v_lshl_add_u32 v29, v57, 3, v0
	ds_read_b64 v[29:30], v29 offset:8
; %bb.158:
	s_or_saveexec_b64 s[0:1], s[0:1]
	s_waitcnt lgkmcnt(0)
	v_mov_b32_e32 v31, v27
	v_mov_b32_e32 v32, v28
	s_xor_b64 exec, exec, s[0:1]
; %bb.159:
	v_lshl_add_u32 v29, v56, 3, v0
	ds_read_b64 v[31:32], v29 offset:8
	v_mov_b32_e32 v30, v26
	v_mov_b32_e32 v29, v25
; %bb.160:
	s_or_b64 exec, exec, s[0:1]
	v_add_u32_e32 v33, 1, v56
	v_add_u32_e32 v34, 1, v57
	v_cndmask_b32_e64 v58, v56, v33, s[8:9]
	v_cndmask_b32_e64 v59, v34, v57, s[8:9]
	v_cmp_lt_i32_e32 vcc, v58, v50
	s_mov_b64 s[10:11], 0
	s_and_saveexec_b64 s[12:13], vcc
	s_cbranch_execz .LBB35_166
; %bb.161:
	v_cmp_lt_i32_e32 vcc, v59, v47
	s_waitcnt lgkmcnt(0)
	v_cmp_nlt_f32_e64 s[0:1], v31, v29
	s_and_b64 s[14:15], vcc, s[0:1]
	s_mov_b64 s[10:11], -1
	s_and_saveexec_b64 s[0:1], s[14:15]
	s_cbranch_execz .LBB35_165
; %bb.162:
	v_cmp_eq_f32_e32 vcc, v31, v29
	s_mov_b64 s[10:11], 0
	s_and_saveexec_b64 s[14:15], vcc
; %bb.163:
	v_cmp_lt_f32_e32 vcc, v32, v30
	s_and_b64 s[10:11], vcc, exec
; %bb.164:
	s_or_b64 exec, exec, s[14:15]
	s_orn2_b64 s[10:11], s[10:11], exec
.LBB35_165:
	s_or_b64 exec, exec, s[0:1]
	s_and_b64 s[10:11], s[10:11], exec
.LBB35_166:
	s_or_b64 exec, exec, s[12:13]
	s_xor_b64 s[0:1], s[10:11], -1
                                        ; implicit-def: $vgpr33
	s_and_saveexec_b64 s[12:13], s[0:1]
	s_xor_b64 s[0:1], exec, s[12:13]
; %bb.167:
	v_lshl_add_u32 v33, v59, 3, v0
	ds_read_b64 v[33:34], v33 offset:8
; %bb.168:
	s_or_saveexec_b64 s[0:1], s[0:1]
	s_waitcnt lgkmcnt(0)
	v_mov_b32_e32 v35, v31
	v_mov_b32_e32 v36, v32
	s_xor_b64 exec, exec, s[0:1]
; %bb.169:
	v_lshl_add_u32 v33, v58, 3, v0
	ds_read_b64 v[35:36], v33 offset:8
	v_mov_b32_e32 v34, v30
	v_mov_b32_e32 v33, v29
; %bb.170:
	s_or_b64 exec, exec, s[0:1]
	v_add_u32_e32 v37, 1, v58
	v_add_u32_e32 v38, 1, v59
	v_cndmask_b32_e64 v60, v58, v37, s[10:11]
	v_cndmask_b32_e64 v61, v38, v59, s[10:11]
	v_cmp_lt_i32_e32 vcc, v60, v50
	s_mov_b64 s[12:13], 0
	s_and_saveexec_b64 s[14:15], vcc
	s_cbranch_execz .LBB35_176
; %bb.171:
	v_cmp_lt_i32_e32 vcc, v61, v47
	s_waitcnt lgkmcnt(0)
	v_cmp_nlt_f32_e64 s[0:1], v35, v33
	s_and_b64 s[16:17], vcc, s[0:1]
	s_mov_b64 s[12:13], -1
	s_and_saveexec_b64 s[0:1], s[16:17]
	s_cbranch_execz .LBB35_175
; %bb.172:
	v_cmp_eq_f32_e32 vcc, v35, v33
	s_mov_b64 s[12:13], 0
	s_and_saveexec_b64 s[16:17], vcc
; %bb.173:
	v_cmp_lt_f32_e32 vcc, v36, v34
	s_and_b64 s[12:13], vcc, exec
; %bb.174:
	s_or_b64 exec, exec, s[16:17]
	s_orn2_b64 s[12:13], s[12:13], exec
.LBB35_175:
	s_or_b64 exec, exec, s[0:1]
	s_and_b64 s[12:13], s[12:13], exec
.LBB35_176:
	s_or_b64 exec, exec, s[14:15]
	s_xor_b64 s[0:1], s[12:13], -1
                                        ; implicit-def: $vgpr37
	s_and_saveexec_b64 s[14:15], s[0:1]
	s_xor_b64 s[0:1], exec, s[14:15]
; %bb.177:
	v_lshl_add_u32 v37, v61, 3, v0
	ds_read_b64 v[37:38], v37 offset:8
; %bb.178:
	s_or_saveexec_b64 s[0:1], s[0:1]
	s_waitcnt lgkmcnt(0)
	v_mov_b32_e32 v39, v35
	v_mov_b32_e32 v40, v36
	s_xor_b64 exec, exec, s[0:1]
; %bb.179:
	v_lshl_add_u32 v37, v60, 3, v0
	ds_read_b64 v[39:40], v37 offset:8
	v_mov_b32_e32 v38, v34
	v_mov_b32_e32 v37, v33
; %bb.180:
	s_or_b64 exec, exec, s[0:1]
	v_add_u32_e32 v41, 1, v60
	v_add_u32_e32 v42, 1, v61
	v_cndmask_b32_e64 v62, v60, v41, s[12:13]
	v_cndmask_b32_e64 v63, v42, v61, s[12:13]
	v_cmp_lt_i32_e32 vcc, v62, v50
	s_mov_b64 s[14:15], 0
	s_and_saveexec_b64 s[16:17], vcc
	s_cbranch_execz .LBB35_186
; %bb.181:
	v_cmp_lt_i32_e32 vcc, v63, v47
	s_waitcnt lgkmcnt(0)
	v_cmp_nlt_f32_e64 s[0:1], v39, v37
	s_and_b64 s[18:19], vcc, s[0:1]
	s_mov_b64 s[14:15], -1
	s_and_saveexec_b64 s[0:1], s[18:19]
	s_cbranch_execz .LBB35_185
; %bb.182:
	v_cmp_eq_f32_e32 vcc, v39, v37
	s_mov_b64 s[14:15], 0
	s_and_saveexec_b64 s[18:19], vcc
; %bb.183:
	v_cmp_lt_f32_e32 vcc, v40, v38
	s_and_b64 s[14:15], vcc, exec
; %bb.184:
	s_or_b64 exec, exec, s[18:19]
	s_orn2_b64 s[14:15], s[14:15], exec
.LBB35_185:
	s_or_b64 exec, exec, s[0:1]
	s_and_b64 s[14:15], s[14:15], exec
.LBB35_186:
	s_or_b64 exec, exec, s[16:17]
	s_xor_b64 s[0:1], s[14:15], -1
                                        ; implicit-def: $vgpr41
	s_and_saveexec_b64 s[16:17], s[0:1]
	s_xor_b64 s[0:1], exec, s[16:17]
; %bb.187:
	v_lshl_add_u32 v41, v63, 3, v0
	ds_read_b64 v[41:42], v41 offset:8
; %bb.188:
	s_or_saveexec_b64 s[0:1], s[0:1]
	s_waitcnt lgkmcnt(0)
	v_mov_b32_e32 v43, v39
	v_mov_b32_e32 v44, v40
	s_xor_b64 exec, exec, s[0:1]
; %bb.189:
	v_lshl_add_u32 v41, v62, 3, v0
	ds_read_b64 v[43:44], v41 offset:8
	v_mov_b32_e32 v42, v38
	v_mov_b32_e32 v41, v37
; %bb.190:
	s_or_b64 exec, exec, s[0:1]
	v_add_u32_e32 v64, 1, v62
	v_add_u32_e32 v65, 1, v63
	v_cndmask_b32_e64 v64, v62, v64, s[14:15]
	v_cndmask_b32_e64 v65, v65, v63, s[14:15]
	v_cmp_lt_i32_e32 vcc, v64, v50
	s_mov_b64 s[0:1], 0
	s_and_saveexec_b64 s[16:17], vcc
	s_cbranch_execz .LBB35_196
; %bb.191:
	v_cmp_lt_i32_e32 vcc, v65, v47
	s_waitcnt lgkmcnt(0)
	v_cmp_nlt_f32_e64 s[0:1], v43, v41
	s_and_b64 s[20:21], vcc, s[0:1]
	s_mov_b64 s[18:19], -1
	s_and_saveexec_b64 s[0:1], s[20:21]
	s_cbranch_execz .LBB35_195
; %bb.192:
	v_cmp_eq_f32_e32 vcc, v43, v41
	s_mov_b64 s[18:19], 0
	s_and_saveexec_b64 s[20:21], vcc
; %bb.193:
	v_cmp_lt_f32_e32 vcc, v44, v42
	s_and_b64 s[18:19], vcc, exec
; %bb.194:
	s_or_b64 exec, exec, s[20:21]
	s_orn2_b64 s[18:19], s[18:19], exec
.LBB35_195:
	s_or_b64 exec, exec, s[0:1]
	s_and_b64 s[0:1], s[18:19], exec
.LBB35_196:
	s_or_b64 exec, exec, s[16:17]
	v_cndmask_b32_e64 v25, v25, v27, s[8:9]
	v_cndmask_b32_e64 v27, v57, v56, s[8:9]
	;; [unrolled: 1-line block ×10, first 2 shown]
	v_lshl_add_u32 v47, v45, 2, v0
	v_cndmask_b32_e64 v37, v37, v39, s[14:15]
	v_cndmask_b32_e64 v39, v63, v62, s[14:15]
	v_cndmask_b32_e64 v33, v33, v35, s[12:13]
	v_cndmask_b32_e64 v35, v61, v60, s[12:13]
	v_cndmask_b32_e64 v29, v29, v31, s[10:11]
	v_cndmask_b32_e64 v31, v59, v58, s[10:11]
	; wave barrier
	ds_write2_b64 v47, v[5:6], v[13:14] offset1:1
	ds_write2_b64 v47, v[11:12], v[3:4] offset0:2 offset1:3
	v_lshl_add_u32 v3, v9, 2, v0
	v_lshl_add_u32 v4, v24, 2, v0
	;; [unrolled: 1-line block ×5, first 2 shown]
	; wave barrier
	v_lshl_add_u32 v13, v31, 2, v0
	v_lshl_add_u32 v14, v35, 2, v0
	;; [unrolled: 1-line block ×3, first 2 shown]
	ds_read_b32 v5, v3
	ds_read_b32 v6, v4
	;; [unrolled: 1-line block ×8, first 2 shown]
	v_cndmask_b32_e64 v17, v19, v17, s[4:5]
	v_cndmask_b32_e64 v18, v20, v18, s[4:5]
	;; [unrolled: 1-line block ×6, first 2 shown]
	s_waitcnt lgkmcnt(10)
	v_cndmask_b32_e64 v19, v41, v43, s[0:1]
	v_cndmask_b32_e64 v20, v42, v44, s[0:1]
	; wave barrier
	ds_write2_b64 v46, v[15:16], v[17:18] offset1:1
	ds_write2_b64 v46, v[21:22], v[25:26] offset0:2 offset1:3
	ds_write2_b64 v46, v[29:30], v[33:34] offset0:4 offset1:5
	;; [unrolled: 1-line block ×3, first 2 shown]
	v_and_b32_e32 v21, 0xe0, v48
	v_or_b32_e32 v49, 16, v21
	v_and_b32_e32 v17, 24, v48
	v_sub_u32_e32 v14, v49, v21
	v_sub_u32_e64 v22, v17, 16 clamp
	v_min_i32_e32 v14, v17, v14
	v_lshl_add_u32 v13, v21, 3, v0
	v_cmp_lt_i32_e32 vcc, v22, v14
	; wave barrier
	s_and_saveexec_b64 s[0:1], vcc
	s_cbranch_execz .LBB35_204
; %bb.197:
	v_lshl_add_u32 v15, v17, 3, v13
	s_mov_b64 s[2:3], 0
                                        ; implicit-def: $sgpr4_sgpr5
	s_branch .LBB35_200
.LBB35_198:                             ;   in Loop: Header=BB35_200 Depth=1
	s_or_b64 exec, exec, s[10:11]
	s_andn2_b64 s[4:5], s[4:5], exec
	s_and_b64 s[8:9], s[8:9], exec
	s_or_b64 s[4:5], s[4:5], s[8:9]
.LBB35_199:                             ;   in Loop: Header=BB35_200 Depth=1
	s_or_b64 exec, exec, s[6:7]
	v_add_u32_e32 v18, 1, v16
	v_cndmask_b32_e64 v14, v14, v16, s[4:5]
	v_cndmask_b32_e64 v22, v18, v22, s[4:5]
	v_cmp_ge_i32_e32 vcc, v22, v14
	s_or_b64 s[2:3], vcc, s[2:3]
	s_andn2_b64 exec, exec, s[2:3]
	s_cbranch_execz .LBB35_203
.LBB35_200:                             ; =>This Inner Loop Header: Depth=1
	v_sub_u32_e32 v16, v14, v22
	v_lshrrev_b32_e32 v16, 1, v16
	v_add_u32_e32 v16, v16, v22
	v_lshl_add_u32 v18, v16, 3, v13
	v_not_b32_e32 v19, v16
	v_lshl_add_u32 v19, v19, 3, v15
	ds_read_b32 v20, v18
	ds_read_b32 v23, v19 offset:128
	s_or_b64 s[4:5], s[4:5], exec
	s_waitcnt lgkmcnt(0)
	v_cmp_nlt_f32_e32 vcc, v23, v20
	s_and_saveexec_b64 s[6:7], vcc
	s_cbranch_execz .LBB35_199
; %bb.201:                              ;   in Loop: Header=BB35_200 Depth=1
	v_cmp_eq_f32_e32 vcc, v23, v20
	s_mov_b64 s[8:9], 0
	s_and_saveexec_b64 s[10:11], vcc
	s_cbranch_execz .LBB35_198
; %bb.202:                              ;   in Loop: Header=BB35_200 Depth=1
	ds_read_b32 v19, v19 offset:132
	ds_read_b32 v18, v18 offset:4
	s_waitcnt lgkmcnt(0)
	v_cmp_lt_f32_e32 vcc, v19, v18
	s_and_b64 s[8:9], vcc, exec
	s_branch .LBB35_198
.LBB35_203:
	s_or_b64 exec, exec, s[2:3]
.LBB35_204:
	s_or_b64 exec, exec, s[0:1]
	v_lshl_add_u32 v20, v22, 3, v13
	v_add_u32_e32 v13, v21, v17
	v_sub_u32_e32 v13, v13, v22
	v_lshl_add_u32 v23, v13, 3, v0
	ds_read_b64 v[13:14], v23 offset:128
	ds_read_b64 v[15:16], v20
	v_add_u32_e32 v17, v49, v17
	v_add_u32_e32 v51, 32, v21
	v_sub_u32_e32 v50, v17, v22
	s_waitcnt lgkmcnt(1)
	v_mov_b32_e32 v17, v13
	v_mov_b32_e32 v18, v14
	v_cmp_gt_i32_e32 vcc, v51, v50
	s_mov_b64 s[2:3], 0
	s_and_saveexec_b64 s[4:5], vcc
	s_cbranch_execz .LBB35_210
; %bb.205:
	v_cmp_gt_i32_e32 vcc, 16, v22
	s_waitcnt lgkmcnt(0)
	v_cmp_nlt_f32_e64 s[0:1], v13, v15
	s_and_b64 s[6:7], vcc, s[0:1]
	s_mov_b64 s[2:3], -1
	s_and_saveexec_b64 s[0:1], s[6:7]
	s_cbranch_execz .LBB35_209
; %bb.206:
	v_cmp_eq_f32_e32 vcc, v13, v15
	s_mov_b64 s[2:3], 0
	s_and_saveexec_b64 s[6:7], vcc
; %bb.207:
	v_cmp_lt_f32_e32 vcc, v14, v16
	s_and_b64 s[2:3], vcc, exec
; %bb.208:
	s_or_b64 exec, exec, s[6:7]
	s_orn2_b64 s[2:3], s[2:3], exec
.LBB35_209:
	s_or_b64 exec, exec, s[0:1]
	s_and_b64 s[2:3], s[2:3], exec
.LBB35_210:
	s_or_b64 exec, exec, s[4:5]
	s_xor_b64 s[0:1], s[2:3], -1
                                        ; implicit-def: $vgpr19
	s_and_saveexec_b64 s[4:5], s[0:1]
	s_xor_b64 s[0:1], exec, s[4:5]
; %bb.211:
	ds_read_b64 v[19:20], v20 offset:8
                                        ; implicit-def: $vgpr23
; %bb.212:
	s_andn2_saveexec_b64 s[0:1], s[0:1]
	s_cbranch_execz .LBB35_214
; %bb.213:
	ds_read_b64 v[17:18], v23 offset:136
	s_waitcnt lgkmcnt(1)
	v_mov_b32_e32 v20, v16
	v_mov_b32_e32 v19, v15
.LBB35_214:
	s_or_b64 exec, exec, s[0:1]
	v_add_u32_e32 v52, v22, v21
	v_add_u32_e32 v21, 1, v50
	;; [unrolled: 1-line block ×3, first 2 shown]
	v_cndmask_b32_e64 v53, v50, v21, s[2:3]
	v_cndmask_b32_e64 v54, v22, v52, s[2:3]
	v_cmp_lt_i32_e32 vcc, v53, v51
	s_mov_b64 s[4:5], 0
	s_and_saveexec_b64 s[6:7], vcc
	s_cbranch_execz .LBB35_220
; %bb.215:
	v_cmp_lt_i32_e32 vcc, v54, v49
	s_waitcnt lgkmcnt(0)
	v_cmp_nlt_f32_e64 s[0:1], v17, v19
	s_and_b64 s[8:9], vcc, s[0:1]
	s_mov_b64 s[4:5], -1
	s_and_saveexec_b64 s[0:1], s[8:9]
	s_cbranch_execz .LBB35_219
; %bb.216:
	v_cmp_eq_f32_e32 vcc, v17, v19
	s_mov_b64 s[4:5], 0
	s_and_saveexec_b64 s[8:9], vcc
; %bb.217:
	v_cmp_lt_f32_e32 vcc, v18, v20
	s_and_b64 s[4:5], vcc, exec
; %bb.218:
	s_or_b64 exec, exec, s[8:9]
	s_orn2_b64 s[4:5], s[4:5], exec
.LBB35_219:
	s_or_b64 exec, exec, s[0:1]
	s_and_b64 s[4:5], s[4:5], exec
.LBB35_220:
	s_or_b64 exec, exec, s[6:7]
	s_xor_b64 s[0:1], s[4:5], -1
                                        ; implicit-def: $vgpr21
	s_and_saveexec_b64 s[6:7], s[0:1]
	s_xor_b64 s[0:1], exec, s[6:7]
; %bb.221:
	v_lshl_add_u32 v21, v54, 3, v0
	ds_read_b64 v[21:22], v21 offset:8
; %bb.222:
	s_or_saveexec_b64 s[0:1], s[0:1]
	s_waitcnt lgkmcnt(0)
	v_mov_b32_e32 v23, v17
	v_mov_b32_e32 v24, v18
	s_xor_b64 exec, exec, s[0:1]
; %bb.223:
	v_lshl_add_u32 v21, v53, 3, v0
	ds_read_b64 v[23:24], v21 offset:8
	v_mov_b32_e32 v22, v20
	v_mov_b32_e32 v21, v19
; %bb.224:
	s_or_b64 exec, exec, s[0:1]
	v_add_u32_e32 v25, 1, v53
	v_add_u32_e32 v26, 1, v54
	v_cndmask_b32_e64 v55, v53, v25, s[4:5]
	v_cndmask_b32_e64 v56, v26, v54, s[4:5]
	v_cmp_lt_i32_e32 vcc, v55, v51
	s_mov_b64 s[6:7], 0
	s_and_saveexec_b64 s[8:9], vcc
	s_cbranch_execz .LBB35_230
; %bb.225:
	v_cmp_lt_i32_e32 vcc, v56, v49
	s_waitcnt lgkmcnt(0)
	v_cmp_nlt_f32_e64 s[0:1], v23, v21
	s_and_b64 s[10:11], vcc, s[0:1]
	s_mov_b64 s[6:7], -1
	s_and_saveexec_b64 s[0:1], s[10:11]
	s_cbranch_execz .LBB35_229
; %bb.226:
	v_cmp_eq_f32_e32 vcc, v23, v21
	s_mov_b64 s[6:7], 0
	s_and_saveexec_b64 s[10:11], vcc
; %bb.227:
	v_cmp_lt_f32_e32 vcc, v24, v22
	s_and_b64 s[6:7], vcc, exec
; %bb.228:
	s_or_b64 exec, exec, s[10:11]
	s_orn2_b64 s[6:7], s[6:7], exec
.LBB35_229:
	s_or_b64 exec, exec, s[0:1]
	s_and_b64 s[6:7], s[6:7], exec
.LBB35_230:
	s_or_b64 exec, exec, s[8:9]
	s_xor_b64 s[0:1], s[6:7], -1
                                        ; implicit-def: $vgpr25
	s_and_saveexec_b64 s[8:9], s[0:1]
	s_xor_b64 s[0:1], exec, s[8:9]
; %bb.231:
	v_lshl_add_u32 v25, v56, 3, v0
	ds_read_b64 v[25:26], v25 offset:8
; %bb.232:
	s_or_saveexec_b64 s[0:1], s[0:1]
	s_waitcnt lgkmcnt(0)
	v_mov_b32_e32 v27, v23
	v_mov_b32_e32 v28, v24
	s_xor_b64 exec, exec, s[0:1]
; %bb.233:
	v_lshl_add_u32 v25, v55, 3, v0
	ds_read_b64 v[27:28], v25 offset:8
	v_mov_b32_e32 v26, v22
	v_mov_b32_e32 v25, v21
; %bb.234:
	s_or_b64 exec, exec, s[0:1]
	v_add_u32_e32 v29, 1, v55
	v_add_u32_e32 v30, 1, v56
	v_cndmask_b32_e64 v57, v55, v29, s[6:7]
	v_cndmask_b32_e64 v58, v30, v56, s[6:7]
	v_cmp_lt_i32_e32 vcc, v57, v51
	s_mov_b64 s[8:9], 0
	s_and_saveexec_b64 s[10:11], vcc
	s_cbranch_execz .LBB35_240
; %bb.235:
	v_cmp_lt_i32_e32 vcc, v58, v49
	s_waitcnt lgkmcnt(0)
	v_cmp_nlt_f32_e64 s[0:1], v27, v25
	s_and_b64 s[12:13], vcc, s[0:1]
	s_mov_b64 s[8:9], -1
	s_and_saveexec_b64 s[0:1], s[12:13]
	s_cbranch_execz .LBB35_239
; %bb.236:
	v_cmp_eq_f32_e32 vcc, v27, v25
	s_mov_b64 s[8:9], 0
	s_and_saveexec_b64 s[12:13], vcc
; %bb.237:
	v_cmp_lt_f32_e32 vcc, v28, v26
	s_and_b64 s[8:9], vcc, exec
; %bb.238:
	s_or_b64 exec, exec, s[12:13]
	s_orn2_b64 s[8:9], s[8:9], exec
.LBB35_239:
	s_or_b64 exec, exec, s[0:1]
	s_and_b64 s[8:9], s[8:9], exec
.LBB35_240:
	s_or_b64 exec, exec, s[10:11]
	s_xor_b64 s[0:1], s[8:9], -1
                                        ; implicit-def: $vgpr29
	s_and_saveexec_b64 s[10:11], s[0:1]
	s_xor_b64 s[0:1], exec, s[10:11]
; %bb.241:
	v_lshl_add_u32 v29, v58, 3, v0
	ds_read_b64 v[29:30], v29 offset:8
; %bb.242:
	s_or_saveexec_b64 s[0:1], s[0:1]
	s_waitcnt lgkmcnt(0)
	v_mov_b32_e32 v31, v27
	v_mov_b32_e32 v32, v28
	s_xor_b64 exec, exec, s[0:1]
; %bb.243:
	v_lshl_add_u32 v29, v57, 3, v0
	ds_read_b64 v[31:32], v29 offset:8
	v_mov_b32_e32 v30, v26
	v_mov_b32_e32 v29, v25
; %bb.244:
	s_or_b64 exec, exec, s[0:1]
	v_add_u32_e32 v33, 1, v57
	v_add_u32_e32 v34, 1, v58
	v_cndmask_b32_e64 v59, v57, v33, s[8:9]
	v_cndmask_b32_e64 v60, v34, v58, s[8:9]
	v_cmp_lt_i32_e32 vcc, v59, v51
	s_mov_b64 s[10:11], 0
	s_and_saveexec_b64 s[12:13], vcc
	s_cbranch_execz .LBB35_250
; %bb.245:
	v_cmp_lt_i32_e32 vcc, v60, v49
	s_waitcnt lgkmcnt(0)
	v_cmp_nlt_f32_e64 s[0:1], v31, v29
	s_and_b64 s[14:15], vcc, s[0:1]
	s_mov_b64 s[10:11], -1
	s_and_saveexec_b64 s[0:1], s[14:15]
	s_cbranch_execz .LBB35_249
; %bb.246:
	v_cmp_eq_f32_e32 vcc, v31, v29
	s_mov_b64 s[10:11], 0
	s_and_saveexec_b64 s[14:15], vcc
; %bb.247:
	v_cmp_lt_f32_e32 vcc, v32, v30
	s_and_b64 s[10:11], vcc, exec
; %bb.248:
	s_or_b64 exec, exec, s[14:15]
	s_orn2_b64 s[10:11], s[10:11], exec
.LBB35_249:
	s_or_b64 exec, exec, s[0:1]
	s_and_b64 s[10:11], s[10:11], exec
.LBB35_250:
	s_or_b64 exec, exec, s[12:13]
	s_xor_b64 s[0:1], s[10:11], -1
                                        ; implicit-def: $vgpr33
	s_and_saveexec_b64 s[12:13], s[0:1]
	s_xor_b64 s[0:1], exec, s[12:13]
; %bb.251:
	v_lshl_add_u32 v33, v60, 3, v0
	ds_read_b64 v[33:34], v33 offset:8
; %bb.252:
	s_or_saveexec_b64 s[0:1], s[0:1]
	s_waitcnt lgkmcnt(0)
	v_mov_b32_e32 v35, v31
	v_mov_b32_e32 v36, v32
	s_xor_b64 exec, exec, s[0:1]
; %bb.253:
	v_lshl_add_u32 v33, v59, 3, v0
	ds_read_b64 v[35:36], v33 offset:8
	v_mov_b32_e32 v34, v30
	v_mov_b32_e32 v33, v29
; %bb.254:
	s_or_b64 exec, exec, s[0:1]
	v_add_u32_e32 v37, 1, v59
	v_add_u32_e32 v38, 1, v60
	v_cndmask_b32_e64 v61, v59, v37, s[10:11]
	v_cndmask_b32_e64 v62, v38, v60, s[10:11]
	v_cmp_lt_i32_e32 vcc, v61, v51
	s_mov_b64 s[12:13], 0
	s_and_saveexec_b64 s[14:15], vcc
	s_cbranch_execz .LBB35_260
; %bb.255:
	v_cmp_lt_i32_e32 vcc, v62, v49
	s_waitcnt lgkmcnt(0)
	v_cmp_nlt_f32_e64 s[0:1], v35, v33
	s_and_b64 s[16:17], vcc, s[0:1]
	s_mov_b64 s[12:13], -1
	s_and_saveexec_b64 s[0:1], s[16:17]
	s_cbranch_execz .LBB35_259
; %bb.256:
	v_cmp_eq_f32_e32 vcc, v35, v33
	s_mov_b64 s[12:13], 0
	s_and_saveexec_b64 s[16:17], vcc
; %bb.257:
	v_cmp_lt_f32_e32 vcc, v36, v34
	s_and_b64 s[12:13], vcc, exec
; %bb.258:
	s_or_b64 exec, exec, s[16:17]
	s_orn2_b64 s[12:13], s[12:13], exec
.LBB35_259:
	s_or_b64 exec, exec, s[0:1]
	s_and_b64 s[12:13], s[12:13], exec
.LBB35_260:
	s_or_b64 exec, exec, s[14:15]
	s_xor_b64 s[0:1], s[12:13], -1
                                        ; implicit-def: $vgpr37
	s_and_saveexec_b64 s[14:15], s[0:1]
	s_xor_b64 s[0:1], exec, s[14:15]
; %bb.261:
	v_lshl_add_u32 v37, v62, 3, v0
	ds_read_b64 v[37:38], v37 offset:8
; %bb.262:
	s_or_saveexec_b64 s[0:1], s[0:1]
	s_waitcnt lgkmcnt(0)
	v_mov_b32_e32 v39, v35
	v_mov_b32_e32 v40, v36
	s_xor_b64 exec, exec, s[0:1]
; %bb.263:
	v_lshl_add_u32 v37, v61, 3, v0
	ds_read_b64 v[39:40], v37 offset:8
	v_mov_b32_e32 v38, v34
	v_mov_b32_e32 v37, v33
; %bb.264:
	s_or_b64 exec, exec, s[0:1]
	v_add_u32_e32 v41, 1, v61
	v_add_u32_e32 v42, 1, v62
	v_cndmask_b32_e64 v63, v61, v41, s[12:13]
	v_cndmask_b32_e64 v64, v42, v62, s[12:13]
	v_cmp_lt_i32_e32 vcc, v63, v51
	s_mov_b64 s[14:15], 0
	s_and_saveexec_b64 s[16:17], vcc
	s_cbranch_execz .LBB35_270
; %bb.265:
	v_cmp_lt_i32_e32 vcc, v64, v49
	s_waitcnt lgkmcnt(0)
	v_cmp_nlt_f32_e64 s[0:1], v39, v37
	s_and_b64 s[18:19], vcc, s[0:1]
	s_mov_b64 s[14:15], -1
	s_and_saveexec_b64 s[0:1], s[18:19]
	s_cbranch_execz .LBB35_269
; %bb.266:
	v_cmp_eq_f32_e32 vcc, v39, v37
	s_mov_b64 s[14:15], 0
	s_and_saveexec_b64 s[18:19], vcc
; %bb.267:
	v_cmp_lt_f32_e32 vcc, v40, v38
	s_and_b64 s[14:15], vcc, exec
; %bb.268:
	s_or_b64 exec, exec, s[18:19]
	s_orn2_b64 s[14:15], s[14:15], exec
.LBB35_269:
	s_or_b64 exec, exec, s[0:1]
	s_and_b64 s[14:15], s[14:15], exec
.LBB35_270:
	s_or_b64 exec, exec, s[16:17]
	s_xor_b64 s[0:1], s[14:15], -1
                                        ; implicit-def: $vgpr41
	s_and_saveexec_b64 s[16:17], s[0:1]
	s_xor_b64 s[0:1], exec, s[16:17]
; %bb.271:
	v_lshl_add_u32 v41, v64, 3, v0
	ds_read_b64 v[41:42], v41 offset:8
; %bb.272:
	s_or_saveexec_b64 s[0:1], s[0:1]
	s_waitcnt lgkmcnt(0)
	v_mov_b32_e32 v43, v39
	v_mov_b32_e32 v44, v40
	s_xor_b64 exec, exec, s[0:1]
; %bb.273:
	v_lshl_add_u32 v41, v63, 3, v0
	ds_read_b64 v[43:44], v41 offset:8
	v_mov_b32_e32 v42, v38
	v_mov_b32_e32 v41, v37
; %bb.274:
	s_or_b64 exec, exec, s[0:1]
	v_add_u32_e32 v65, 1, v63
	v_add_u32_e32 v66, 1, v64
	v_cndmask_b32_e64 v65, v63, v65, s[14:15]
	v_cndmask_b32_e64 v66, v66, v64, s[14:15]
	v_cmp_lt_i32_e32 vcc, v65, v51
	s_mov_b64 s[0:1], 0
	s_and_saveexec_b64 s[16:17], vcc
	s_cbranch_execz .LBB35_280
; %bb.275:
	v_cmp_lt_i32_e32 vcc, v66, v49
	s_waitcnt lgkmcnt(0)
	v_cmp_nlt_f32_e64 s[0:1], v43, v41
	s_and_b64 s[20:21], vcc, s[0:1]
	s_mov_b64 s[18:19], -1
	s_and_saveexec_b64 s[0:1], s[20:21]
	s_cbranch_execz .LBB35_279
; %bb.276:
	v_cmp_eq_f32_e32 vcc, v43, v41
	s_mov_b64 s[18:19], 0
	s_and_saveexec_b64 s[20:21], vcc
; %bb.277:
	v_cmp_lt_f32_e32 vcc, v44, v42
	s_and_b64 s[18:19], vcc, exec
; %bb.278:
	s_or_b64 exec, exec, s[20:21]
	s_orn2_b64 s[18:19], s[18:19], exec
.LBB35_279:
	s_or_b64 exec, exec, s[0:1]
	s_and_b64 s[0:1], s[18:19], exec
.LBB35_280:
	s_or_b64 exec, exec, s[16:17]
	v_cndmask_b32_e64 v25, v25, v27, s[8:9]
	v_cndmask_b32_e64 v27, v58, v57, s[8:9]
	v_cndmask_b32_e64 v21, v21, v23, s[6:7]
	v_cndmask_b32_e64 v23, v56, v55, s[6:7]
	v_cndmask_b32_e64 v17, v19, v17, s[4:5]
	v_cndmask_b32_e64 v18, v20, v18, s[4:5]
	v_cndmask_b32_e64 v19, v54, v53, s[4:5]
	v_cndmask_b32_e64 v20, v52, v50, s[2:3]
	v_cndmask_b32_e64 v37, v37, v39, s[14:15]
	v_cndmask_b32_e64 v39, v64, v63, s[14:15]
	v_cndmask_b32_e64 v33, v33, v35, s[12:13]
	v_cndmask_b32_e64 v35, v62, v61, s[12:13]
	v_cndmask_b32_e64 v29, v29, v31, s[10:11]
	v_cndmask_b32_e64 v31, v60, v59, s[10:11]
	v_cndmask_b32_e64 v22, v22, v24, s[6:7]
	v_cndmask_b32_e64 v24, v66, v65, s[0:1]
	; wave barrier
	ds_write2_b64 v47, v[5:6], v[11:12] offset1:1
	ds_write2_b64 v47, v[3:4], v[9:10] offset0:2 offset1:3
	v_lshl_add_u32 v3, v20, 2, v0
	v_lshl_add_u32 v4, v19, 2, v0
	;; [unrolled: 1-line block ×4, first 2 shown]
	; wave barrier
	v_lshl_add_u32 v19, v31, 2, v0
	v_lshl_add_u32 v20, v35, 2, v0
	;; [unrolled: 1-line block ×4, first 2 shown]
	ds_read_b32 v5, v3
	ds_read_b32 v6, v4
	;; [unrolled: 1-line block ×8, first 2 shown]
	v_cndmask_b32_e64 v13, v15, v13, s[2:3]
	v_cndmask_b32_e64 v14, v16, v14, s[2:3]
	;; [unrolled: 1-line block ×6, first 2 shown]
	s_waitcnt lgkmcnt(10)
	v_cndmask_b32_e64 v15, v41, v43, s[0:1]
	v_cndmask_b32_e64 v16, v42, v44, s[0:1]
	; wave barrier
	ds_write2_b64 v46, v[13:14], v[17:18] offset1:1
	ds_write2_b64 v46, v[21:22], v[25:26] offset0:2 offset1:3
	ds_write2_b64 v46, v[29:30], v[33:34] offset0:4 offset1:5
	;; [unrolled: 1-line block ×3, first 2 shown]
	v_and_b32_e32 v21, 0xc0, v48
	v_or_b32_e32 v49, 32, v21
	v_and_b32_e32 v17, 56, v48
	v_sub_u32_e32 v14, v49, v21
	v_sub_u32_e64 v22, v17, 32 clamp
	v_min_i32_e32 v14, v17, v14
	v_lshl_add_u32 v13, v21, 3, v0
	v_cmp_lt_i32_e32 vcc, v22, v14
	; wave barrier
	s_and_saveexec_b64 s[0:1], vcc
	s_cbranch_execz .LBB35_288
; %bb.281:
	v_lshl_add_u32 v15, v17, 3, v13
	s_mov_b64 s[2:3], 0
                                        ; implicit-def: $sgpr4_sgpr5
	s_branch .LBB35_284
.LBB35_282:                             ;   in Loop: Header=BB35_284 Depth=1
	s_or_b64 exec, exec, s[10:11]
	s_andn2_b64 s[4:5], s[4:5], exec
	s_and_b64 s[8:9], s[8:9], exec
	s_or_b64 s[4:5], s[4:5], s[8:9]
.LBB35_283:                             ;   in Loop: Header=BB35_284 Depth=1
	s_or_b64 exec, exec, s[6:7]
	v_add_u32_e32 v18, 1, v16
	v_cndmask_b32_e64 v14, v14, v16, s[4:5]
	v_cndmask_b32_e64 v22, v18, v22, s[4:5]
	v_cmp_ge_i32_e32 vcc, v22, v14
	s_or_b64 s[2:3], vcc, s[2:3]
	s_andn2_b64 exec, exec, s[2:3]
	s_cbranch_execz .LBB35_287
.LBB35_284:                             ; =>This Inner Loop Header: Depth=1
	v_sub_u32_e32 v16, v14, v22
	v_lshrrev_b32_e32 v16, 1, v16
	v_add_u32_e32 v16, v16, v22
	v_lshl_add_u32 v18, v16, 3, v13
	v_not_b32_e32 v19, v16
	v_lshl_add_u32 v19, v19, 3, v15
	ds_read_b32 v20, v18
	ds_read_b32 v23, v19 offset:256
	s_or_b64 s[4:5], s[4:5], exec
	s_waitcnt lgkmcnt(0)
	v_cmp_nlt_f32_e32 vcc, v23, v20
	s_and_saveexec_b64 s[6:7], vcc
	s_cbranch_execz .LBB35_283
; %bb.285:                              ;   in Loop: Header=BB35_284 Depth=1
	v_cmp_eq_f32_e32 vcc, v23, v20
	s_mov_b64 s[8:9], 0
	s_and_saveexec_b64 s[10:11], vcc
	s_cbranch_execz .LBB35_282
; %bb.286:                              ;   in Loop: Header=BB35_284 Depth=1
	ds_read_b32 v19, v19 offset:260
	ds_read_b32 v18, v18 offset:4
	s_waitcnt lgkmcnt(0)
	v_cmp_lt_f32_e32 vcc, v19, v18
	s_and_b64 s[8:9], vcc, exec
	s_branch .LBB35_282
.LBB35_287:
	s_or_b64 exec, exec, s[2:3]
.LBB35_288:
	s_or_b64 exec, exec, s[0:1]
	v_lshl_add_u32 v20, v22, 3, v13
	v_add_u32_e32 v13, v21, v17
	v_sub_u32_e32 v13, v13, v22
	v_lshl_add_u32 v23, v13, 3, v0
	ds_read_b64 v[13:14], v23 offset:256
	ds_read_b64 v[15:16], v20
	v_add_u32_e32 v17, v49, v17
	v_add_u32_e32 v51, 64, v21
	v_sub_u32_e32 v50, v17, v22
	s_waitcnt lgkmcnt(1)
	v_mov_b32_e32 v17, v13
	v_mov_b32_e32 v18, v14
	v_cmp_gt_i32_e32 vcc, v51, v50
	s_mov_b64 s[2:3], 0
	s_and_saveexec_b64 s[4:5], vcc
	s_cbranch_execz .LBB35_294
; %bb.289:
	v_cmp_gt_i32_e32 vcc, 32, v22
	s_waitcnt lgkmcnt(0)
	v_cmp_nlt_f32_e64 s[0:1], v13, v15
	s_and_b64 s[6:7], vcc, s[0:1]
	s_mov_b64 s[2:3], -1
	s_and_saveexec_b64 s[0:1], s[6:7]
	s_cbranch_execz .LBB35_293
; %bb.290:
	v_cmp_eq_f32_e32 vcc, v13, v15
	s_mov_b64 s[2:3], 0
	s_and_saveexec_b64 s[6:7], vcc
; %bb.291:
	v_cmp_lt_f32_e32 vcc, v14, v16
	s_and_b64 s[2:3], vcc, exec
; %bb.292:
	s_or_b64 exec, exec, s[6:7]
	s_orn2_b64 s[2:3], s[2:3], exec
.LBB35_293:
	s_or_b64 exec, exec, s[0:1]
	s_and_b64 s[2:3], s[2:3], exec
.LBB35_294:
	s_or_b64 exec, exec, s[4:5]
	s_xor_b64 s[0:1], s[2:3], -1
                                        ; implicit-def: $vgpr19
	s_and_saveexec_b64 s[4:5], s[0:1]
	s_xor_b64 s[0:1], exec, s[4:5]
; %bb.295:
	ds_read_b64 v[19:20], v20 offset:8
                                        ; implicit-def: $vgpr23
; %bb.296:
	s_andn2_saveexec_b64 s[0:1], s[0:1]
	s_cbranch_execz .LBB35_298
; %bb.297:
	ds_read_b64 v[17:18], v23 offset:264
	s_waitcnt lgkmcnt(1)
	v_mov_b32_e32 v20, v16
	v_mov_b32_e32 v19, v15
.LBB35_298:
	s_or_b64 exec, exec, s[0:1]
	v_add_u32_e32 v52, v22, v21
	v_add_u32_e32 v21, 1, v50
	v_add_u32_e32 v22, 1, v52
	v_cndmask_b32_e64 v53, v50, v21, s[2:3]
	v_cndmask_b32_e64 v54, v22, v52, s[2:3]
	v_cmp_lt_i32_e32 vcc, v53, v51
	s_mov_b64 s[4:5], 0
	s_and_saveexec_b64 s[6:7], vcc
	s_cbranch_execz .LBB35_304
; %bb.299:
	v_cmp_lt_i32_e32 vcc, v54, v49
	s_waitcnt lgkmcnt(0)
	v_cmp_nlt_f32_e64 s[0:1], v17, v19
	s_and_b64 s[8:9], vcc, s[0:1]
	s_mov_b64 s[4:5], -1
	s_and_saveexec_b64 s[0:1], s[8:9]
	s_cbranch_execz .LBB35_303
; %bb.300:
	v_cmp_eq_f32_e32 vcc, v17, v19
	s_mov_b64 s[4:5], 0
	s_and_saveexec_b64 s[8:9], vcc
; %bb.301:
	v_cmp_lt_f32_e32 vcc, v18, v20
	s_and_b64 s[4:5], vcc, exec
; %bb.302:
	s_or_b64 exec, exec, s[8:9]
	s_orn2_b64 s[4:5], s[4:5], exec
.LBB35_303:
	s_or_b64 exec, exec, s[0:1]
	s_and_b64 s[4:5], s[4:5], exec
.LBB35_304:
	s_or_b64 exec, exec, s[6:7]
	s_xor_b64 s[0:1], s[4:5], -1
                                        ; implicit-def: $vgpr21
	s_and_saveexec_b64 s[6:7], s[0:1]
	s_xor_b64 s[0:1], exec, s[6:7]
; %bb.305:
	v_lshl_add_u32 v21, v54, 3, v0
	ds_read_b64 v[21:22], v21 offset:8
; %bb.306:
	s_or_saveexec_b64 s[0:1], s[0:1]
	s_waitcnt lgkmcnt(0)
	v_mov_b32_e32 v23, v17
	v_mov_b32_e32 v24, v18
	s_xor_b64 exec, exec, s[0:1]
; %bb.307:
	v_lshl_add_u32 v21, v53, 3, v0
	ds_read_b64 v[23:24], v21 offset:8
	v_mov_b32_e32 v22, v20
	v_mov_b32_e32 v21, v19
; %bb.308:
	s_or_b64 exec, exec, s[0:1]
	v_add_u32_e32 v25, 1, v53
	v_add_u32_e32 v26, 1, v54
	v_cndmask_b32_e64 v55, v53, v25, s[4:5]
	v_cndmask_b32_e64 v56, v26, v54, s[4:5]
	v_cmp_lt_i32_e32 vcc, v55, v51
	s_mov_b64 s[6:7], 0
	s_and_saveexec_b64 s[8:9], vcc
	s_cbranch_execz .LBB35_314
; %bb.309:
	v_cmp_lt_i32_e32 vcc, v56, v49
	s_waitcnt lgkmcnt(0)
	v_cmp_nlt_f32_e64 s[0:1], v23, v21
	s_and_b64 s[10:11], vcc, s[0:1]
	s_mov_b64 s[6:7], -1
	s_and_saveexec_b64 s[0:1], s[10:11]
	s_cbranch_execz .LBB35_313
; %bb.310:
	v_cmp_eq_f32_e32 vcc, v23, v21
	s_mov_b64 s[6:7], 0
	s_and_saveexec_b64 s[10:11], vcc
; %bb.311:
	v_cmp_lt_f32_e32 vcc, v24, v22
	s_and_b64 s[6:7], vcc, exec
; %bb.312:
	s_or_b64 exec, exec, s[10:11]
	s_orn2_b64 s[6:7], s[6:7], exec
.LBB35_313:
	s_or_b64 exec, exec, s[0:1]
	s_and_b64 s[6:7], s[6:7], exec
.LBB35_314:
	s_or_b64 exec, exec, s[8:9]
	s_xor_b64 s[0:1], s[6:7], -1
                                        ; implicit-def: $vgpr25
	s_and_saveexec_b64 s[8:9], s[0:1]
	s_xor_b64 s[0:1], exec, s[8:9]
; %bb.315:
	v_lshl_add_u32 v25, v56, 3, v0
	ds_read_b64 v[25:26], v25 offset:8
; %bb.316:
	s_or_saveexec_b64 s[0:1], s[0:1]
	s_waitcnt lgkmcnt(0)
	v_mov_b32_e32 v27, v23
	v_mov_b32_e32 v28, v24
	s_xor_b64 exec, exec, s[0:1]
; %bb.317:
	v_lshl_add_u32 v25, v55, 3, v0
	ds_read_b64 v[27:28], v25 offset:8
	v_mov_b32_e32 v26, v22
	v_mov_b32_e32 v25, v21
; %bb.318:
	s_or_b64 exec, exec, s[0:1]
	v_add_u32_e32 v29, 1, v55
	v_add_u32_e32 v30, 1, v56
	v_cndmask_b32_e64 v57, v55, v29, s[6:7]
	v_cndmask_b32_e64 v58, v30, v56, s[6:7]
	v_cmp_lt_i32_e32 vcc, v57, v51
	s_mov_b64 s[8:9], 0
	s_and_saveexec_b64 s[10:11], vcc
	s_cbranch_execz .LBB35_324
; %bb.319:
	v_cmp_lt_i32_e32 vcc, v58, v49
	s_waitcnt lgkmcnt(0)
	v_cmp_nlt_f32_e64 s[0:1], v27, v25
	s_and_b64 s[12:13], vcc, s[0:1]
	s_mov_b64 s[8:9], -1
	s_and_saveexec_b64 s[0:1], s[12:13]
	s_cbranch_execz .LBB35_323
; %bb.320:
	v_cmp_eq_f32_e32 vcc, v27, v25
	s_mov_b64 s[8:9], 0
	s_and_saveexec_b64 s[12:13], vcc
; %bb.321:
	v_cmp_lt_f32_e32 vcc, v28, v26
	s_and_b64 s[8:9], vcc, exec
; %bb.322:
	s_or_b64 exec, exec, s[12:13]
	s_orn2_b64 s[8:9], s[8:9], exec
.LBB35_323:
	s_or_b64 exec, exec, s[0:1]
	s_and_b64 s[8:9], s[8:9], exec
.LBB35_324:
	s_or_b64 exec, exec, s[10:11]
	s_xor_b64 s[0:1], s[8:9], -1
                                        ; implicit-def: $vgpr29
	s_and_saveexec_b64 s[10:11], s[0:1]
	s_xor_b64 s[0:1], exec, s[10:11]
; %bb.325:
	v_lshl_add_u32 v29, v58, 3, v0
	ds_read_b64 v[29:30], v29 offset:8
; %bb.326:
	s_or_saveexec_b64 s[0:1], s[0:1]
	s_waitcnt lgkmcnt(0)
	v_mov_b32_e32 v31, v27
	v_mov_b32_e32 v32, v28
	s_xor_b64 exec, exec, s[0:1]
; %bb.327:
	v_lshl_add_u32 v29, v57, 3, v0
	ds_read_b64 v[31:32], v29 offset:8
	v_mov_b32_e32 v30, v26
	v_mov_b32_e32 v29, v25
; %bb.328:
	s_or_b64 exec, exec, s[0:1]
	v_add_u32_e32 v33, 1, v57
	v_add_u32_e32 v34, 1, v58
	v_cndmask_b32_e64 v59, v57, v33, s[8:9]
	v_cndmask_b32_e64 v60, v34, v58, s[8:9]
	v_cmp_lt_i32_e32 vcc, v59, v51
	s_mov_b64 s[10:11], 0
	s_and_saveexec_b64 s[12:13], vcc
	s_cbranch_execz .LBB35_334
; %bb.329:
	v_cmp_lt_i32_e32 vcc, v60, v49
	s_waitcnt lgkmcnt(0)
	v_cmp_nlt_f32_e64 s[0:1], v31, v29
	s_and_b64 s[14:15], vcc, s[0:1]
	s_mov_b64 s[10:11], -1
	s_and_saveexec_b64 s[0:1], s[14:15]
	s_cbranch_execz .LBB35_333
; %bb.330:
	v_cmp_eq_f32_e32 vcc, v31, v29
	s_mov_b64 s[10:11], 0
	s_and_saveexec_b64 s[14:15], vcc
; %bb.331:
	v_cmp_lt_f32_e32 vcc, v32, v30
	s_and_b64 s[10:11], vcc, exec
; %bb.332:
	s_or_b64 exec, exec, s[14:15]
	s_orn2_b64 s[10:11], s[10:11], exec
.LBB35_333:
	s_or_b64 exec, exec, s[0:1]
	s_and_b64 s[10:11], s[10:11], exec
.LBB35_334:
	s_or_b64 exec, exec, s[12:13]
	s_xor_b64 s[0:1], s[10:11], -1
                                        ; implicit-def: $vgpr33
	s_and_saveexec_b64 s[12:13], s[0:1]
	s_xor_b64 s[0:1], exec, s[12:13]
; %bb.335:
	v_lshl_add_u32 v33, v60, 3, v0
	ds_read_b64 v[33:34], v33 offset:8
; %bb.336:
	s_or_saveexec_b64 s[0:1], s[0:1]
	s_waitcnt lgkmcnt(0)
	v_mov_b32_e32 v35, v31
	v_mov_b32_e32 v36, v32
	s_xor_b64 exec, exec, s[0:1]
; %bb.337:
	v_lshl_add_u32 v33, v59, 3, v0
	ds_read_b64 v[35:36], v33 offset:8
	v_mov_b32_e32 v34, v30
	v_mov_b32_e32 v33, v29
; %bb.338:
	s_or_b64 exec, exec, s[0:1]
	v_add_u32_e32 v37, 1, v59
	v_add_u32_e32 v38, 1, v60
	v_cndmask_b32_e64 v61, v59, v37, s[10:11]
	v_cndmask_b32_e64 v62, v38, v60, s[10:11]
	v_cmp_lt_i32_e32 vcc, v61, v51
	s_mov_b64 s[12:13], 0
	s_and_saveexec_b64 s[14:15], vcc
	s_cbranch_execz .LBB35_344
; %bb.339:
	v_cmp_lt_i32_e32 vcc, v62, v49
	s_waitcnt lgkmcnt(0)
	v_cmp_nlt_f32_e64 s[0:1], v35, v33
	s_and_b64 s[16:17], vcc, s[0:1]
	s_mov_b64 s[12:13], -1
	s_and_saveexec_b64 s[0:1], s[16:17]
	s_cbranch_execz .LBB35_343
; %bb.340:
	v_cmp_eq_f32_e32 vcc, v35, v33
	s_mov_b64 s[12:13], 0
	s_and_saveexec_b64 s[16:17], vcc
; %bb.341:
	v_cmp_lt_f32_e32 vcc, v36, v34
	s_and_b64 s[12:13], vcc, exec
; %bb.342:
	s_or_b64 exec, exec, s[16:17]
	s_orn2_b64 s[12:13], s[12:13], exec
.LBB35_343:
	s_or_b64 exec, exec, s[0:1]
	s_and_b64 s[12:13], s[12:13], exec
.LBB35_344:
	s_or_b64 exec, exec, s[14:15]
	s_xor_b64 s[0:1], s[12:13], -1
                                        ; implicit-def: $vgpr37
	s_and_saveexec_b64 s[14:15], s[0:1]
	s_xor_b64 s[0:1], exec, s[14:15]
; %bb.345:
	v_lshl_add_u32 v37, v62, 3, v0
	ds_read_b64 v[37:38], v37 offset:8
; %bb.346:
	s_or_saveexec_b64 s[0:1], s[0:1]
	s_waitcnt lgkmcnt(0)
	v_mov_b32_e32 v39, v35
	v_mov_b32_e32 v40, v36
	s_xor_b64 exec, exec, s[0:1]
; %bb.347:
	v_lshl_add_u32 v37, v61, 3, v0
	ds_read_b64 v[39:40], v37 offset:8
	v_mov_b32_e32 v38, v34
	v_mov_b32_e32 v37, v33
; %bb.348:
	s_or_b64 exec, exec, s[0:1]
	v_add_u32_e32 v41, 1, v61
	v_add_u32_e32 v42, 1, v62
	v_cndmask_b32_e64 v63, v61, v41, s[12:13]
	v_cndmask_b32_e64 v64, v42, v62, s[12:13]
	v_cmp_lt_i32_e32 vcc, v63, v51
	s_mov_b64 s[14:15], 0
	s_and_saveexec_b64 s[16:17], vcc
	s_cbranch_execz .LBB35_354
; %bb.349:
	v_cmp_lt_i32_e32 vcc, v64, v49
	s_waitcnt lgkmcnt(0)
	v_cmp_nlt_f32_e64 s[0:1], v39, v37
	s_and_b64 s[18:19], vcc, s[0:1]
	s_mov_b64 s[14:15], -1
	s_and_saveexec_b64 s[0:1], s[18:19]
	s_cbranch_execz .LBB35_353
; %bb.350:
	v_cmp_eq_f32_e32 vcc, v39, v37
	s_mov_b64 s[14:15], 0
	s_and_saveexec_b64 s[18:19], vcc
; %bb.351:
	v_cmp_lt_f32_e32 vcc, v40, v38
	s_and_b64 s[14:15], vcc, exec
; %bb.352:
	s_or_b64 exec, exec, s[18:19]
	s_orn2_b64 s[14:15], s[14:15], exec
.LBB35_353:
	s_or_b64 exec, exec, s[0:1]
	s_and_b64 s[14:15], s[14:15], exec
.LBB35_354:
	s_or_b64 exec, exec, s[16:17]
	s_xor_b64 s[0:1], s[14:15], -1
                                        ; implicit-def: $vgpr41
	s_and_saveexec_b64 s[16:17], s[0:1]
	s_xor_b64 s[0:1], exec, s[16:17]
; %bb.355:
	v_lshl_add_u32 v41, v64, 3, v0
	ds_read_b64 v[41:42], v41 offset:8
; %bb.356:
	s_or_saveexec_b64 s[0:1], s[0:1]
	s_waitcnt lgkmcnt(0)
	v_mov_b32_e32 v43, v39
	v_mov_b32_e32 v44, v40
	s_xor_b64 exec, exec, s[0:1]
; %bb.357:
	v_lshl_add_u32 v41, v63, 3, v0
	ds_read_b64 v[43:44], v41 offset:8
	v_mov_b32_e32 v42, v38
	v_mov_b32_e32 v41, v37
; %bb.358:
	s_or_b64 exec, exec, s[0:1]
	v_add_u32_e32 v65, 1, v63
	v_add_u32_e32 v66, 1, v64
	v_cndmask_b32_e64 v65, v63, v65, s[14:15]
	v_cndmask_b32_e64 v66, v66, v64, s[14:15]
	v_cmp_lt_i32_e32 vcc, v65, v51
	s_mov_b64 s[0:1], 0
	s_and_saveexec_b64 s[16:17], vcc
	s_cbranch_execz .LBB35_364
; %bb.359:
	v_cmp_lt_i32_e32 vcc, v66, v49
	s_waitcnt lgkmcnt(0)
	v_cmp_nlt_f32_e64 s[0:1], v43, v41
	s_and_b64 s[20:21], vcc, s[0:1]
	s_mov_b64 s[18:19], -1
	s_and_saveexec_b64 s[0:1], s[20:21]
	s_cbranch_execz .LBB35_363
; %bb.360:
	v_cmp_eq_f32_e32 vcc, v43, v41
	s_mov_b64 s[18:19], 0
	s_and_saveexec_b64 s[20:21], vcc
; %bb.361:
	v_cmp_lt_f32_e32 vcc, v44, v42
	s_and_b64 s[18:19], vcc, exec
; %bb.362:
	s_or_b64 exec, exec, s[20:21]
	s_orn2_b64 s[18:19], s[18:19], exec
.LBB35_363:
	s_or_b64 exec, exec, s[0:1]
	s_and_b64 s[0:1], s[18:19], exec
.LBB35_364:
	s_or_b64 exec, exec, s[16:17]
	v_cndmask_b32_e64 v25, v25, v27, s[8:9]
	v_cndmask_b32_e64 v27, v58, v57, s[8:9]
	;; [unrolled: 1-line block ×16, first 2 shown]
	; wave barrier
	ds_write2_b64 v47, v[5:6], v[11:12] offset1:1
	ds_write2_b64 v47, v[3:4], v[9:10] offset0:2 offset1:3
	v_lshl_add_u32 v3, v20, 2, v0
	v_lshl_add_u32 v4, v19, 2, v0
	;; [unrolled: 1-line block ×4, first 2 shown]
	; wave barrier
	v_lshl_add_u32 v19, v31, 2, v0
	v_lshl_add_u32 v20, v35, 2, v0
	;; [unrolled: 1-line block ×4, first 2 shown]
	ds_read_b32 v5, v3
	ds_read_b32 v6, v4
	;; [unrolled: 1-line block ×8, first 2 shown]
	v_cndmask_b32_e64 v13, v15, v13, s[2:3]
	v_cndmask_b32_e64 v14, v16, v14, s[2:3]
	;; [unrolled: 1-line block ×6, first 2 shown]
	s_waitcnt lgkmcnt(10)
	v_cndmask_b32_e64 v15, v41, v43, s[0:1]
	v_cndmask_b32_e64 v16, v42, v44, s[0:1]
	; wave barrier
	ds_write2_b64 v46, v[13:14], v[17:18] offset1:1
	ds_write2_b64 v46, v[21:22], v[25:26] offset0:2 offset1:3
	ds_write2_b64 v46, v[29:30], v[33:34] offset0:4 offset1:5
	;; [unrolled: 1-line block ×3, first 2 shown]
	v_and_b32_e32 v21, 0x80, v48
	v_and_b32_e32 v17, 0x78, v48
	v_or_b32_e32 v48, 64, v21
	v_sub_u32_e32 v14, v48, v21
	v_sub_u32_e64 v22, v17, 64 clamp
	v_min_i32_e32 v14, v17, v14
	v_lshl_add_u32 v13, v21, 3, v0
	v_cmp_lt_i32_e32 vcc, v22, v14
	; wave barrier
	s_and_saveexec_b64 s[0:1], vcc
	s_cbranch_execz .LBB35_372
; %bb.365:
	v_lshl_add_u32 v15, v17, 3, v13
	s_mov_b64 s[2:3], 0
                                        ; implicit-def: $sgpr4_sgpr5
	s_branch .LBB35_368
.LBB35_366:                             ;   in Loop: Header=BB35_368 Depth=1
	s_or_b64 exec, exec, s[10:11]
	s_andn2_b64 s[4:5], s[4:5], exec
	s_and_b64 s[8:9], s[8:9], exec
	s_or_b64 s[4:5], s[4:5], s[8:9]
.LBB35_367:                             ;   in Loop: Header=BB35_368 Depth=1
	s_or_b64 exec, exec, s[6:7]
	v_add_u32_e32 v18, 1, v16
	v_cndmask_b32_e64 v14, v14, v16, s[4:5]
	v_cndmask_b32_e64 v22, v18, v22, s[4:5]
	v_cmp_ge_i32_e32 vcc, v22, v14
	s_or_b64 s[2:3], vcc, s[2:3]
	s_andn2_b64 exec, exec, s[2:3]
	s_cbranch_execz .LBB35_371
.LBB35_368:                             ; =>This Inner Loop Header: Depth=1
	v_sub_u32_e32 v16, v14, v22
	v_lshrrev_b32_e32 v16, 1, v16
	v_add_u32_e32 v16, v16, v22
	v_lshl_add_u32 v18, v16, 3, v13
	v_not_b32_e32 v19, v16
	v_lshl_add_u32 v19, v19, 3, v15
	ds_read_b32 v20, v18
	ds_read_b32 v23, v19 offset:512
	s_or_b64 s[4:5], s[4:5], exec
	s_waitcnt lgkmcnt(0)
	v_cmp_nlt_f32_e32 vcc, v23, v20
	s_and_saveexec_b64 s[6:7], vcc
	s_cbranch_execz .LBB35_367
; %bb.369:                              ;   in Loop: Header=BB35_368 Depth=1
	v_cmp_eq_f32_e32 vcc, v23, v20
	s_mov_b64 s[8:9], 0
	s_and_saveexec_b64 s[10:11], vcc
	s_cbranch_execz .LBB35_366
; %bb.370:                              ;   in Loop: Header=BB35_368 Depth=1
	ds_read_b32 v19, v19 offset:516
	ds_read_b32 v18, v18 offset:4
	s_waitcnt lgkmcnt(0)
	v_cmp_lt_f32_e32 vcc, v19, v18
	s_and_b64 s[8:9], vcc, exec
	s_branch .LBB35_366
.LBB35_371:
	s_or_b64 exec, exec, s[2:3]
.LBB35_372:
	s_or_b64 exec, exec, s[0:1]
	v_lshl_add_u32 v20, v22, 3, v13
	v_add_u32_e32 v13, v21, v17
	v_sub_u32_e32 v13, v13, v22
	v_lshl_add_u32 v23, v13, 3, v0
	ds_read_b64 v[13:14], v23 offset:512
	ds_read_b64 v[15:16], v20
	v_add_u32_e32 v17, v48, v17
	v_add_u32_e32 v50, 0x80, v21
	v_sub_u32_e32 v49, v17, v22
	s_waitcnt lgkmcnt(1)
	v_mov_b32_e32 v17, v13
	v_mov_b32_e32 v18, v14
	v_cmp_gt_i32_e32 vcc, v50, v49
	s_mov_b64 s[2:3], 0
	s_and_saveexec_b64 s[4:5], vcc
	s_cbranch_execz .LBB35_378
; %bb.373:
	v_cmp_gt_i32_e32 vcc, 64, v22
	s_waitcnt lgkmcnt(0)
	v_cmp_nlt_f32_e64 s[0:1], v13, v15
	s_and_b64 s[6:7], vcc, s[0:1]
	s_mov_b64 s[2:3], -1
	s_and_saveexec_b64 s[0:1], s[6:7]
	s_cbranch_execz .LBB35_377
; %bb.374:
	v_cmp_eq_f32_e32 vcc, v13, v15
	s_mov_b64 s[2:3], 0
	s_and_saveexec_b64 s[6:7], vcc
; %bb.375:
	v_cmp_lt_f32_e32 vcc, v14, v16
	s_and_b64 s[2:3], vcc, exec
; %bb.376:
	s_or_b64 exec, exec, s[6:7]
	s_orn2_b64 s[2:3], s[2:3], exec
.LBB35_377:
	s_or_b64 exec, exec, s[0:1]
	s_and_b64 s[2:3], s[2:3], exec
.LBB35_378:
	s_or_b64 exec, exec, s[4:5]
	s_xor_b64 s[0:1], s[2:3], -1
                                        ; implicit-def: $vgpr19
	s_and_saveexec_b64 s[4:5], s[0:1]
	s_xor_b64 s[0:1], exec, s[4:5]
; %bb.379:
	ds_read_b64 v[19:20], v20 offset:8
                                        ; implicit-def: $vgpr23
; %bb.380:
	s_andn2_saveexec_b64 s[0:1], s[0:1]
	s_cbranch_execz .LBB35_382
; %bb.381:
	ds_read_b64 v[17:18], v23 offset:520
	s_waitcnt lgkmcnt(1)
	v_mov_b32_e32 v20, v16
	v_mov_b32_e32 v19, v15
.LBB35_382:
	s_or_b64 exec, exec, s[0:1]
	v_add_u32_e32 v51, v22, v21
	v_add_u32_e32 v21, 1, v49
	;; [unrolled: 1-line block ×3, first 2 shown]
	v_cndmask_b32_e64 v52, v49, v21, s[2:3]
	v_cndmask_b32_e64 v53, v22, v51, s[2:3]
	v_cmp_lt_i32_e32 vcc, v52, v50
	s_mov_b64 s[4:5], 0
	s_and_saveexec_b64 s[6:7], vcc
	s_cbranch_execz .LBB35_388
; %bb.383:
	v_cmp_lt_i32_e32 vcc, v53, v48
	s_waitcnt lgkmcnt(0)
	v_cmp_nlt_f32_e64 s[0:1], v17, v19
	s_and_b64 s[8:9], vcc, s[0:1]
	s_mov_b64 s[4:5], -1
	s_and_saveexec_b64 s[0:1], s[8:9]
	s_cbranch_execz .LBB35_387
; %bb.384:
	v_cmp_eq_f32_e32 vcc, v17, v19
	s_mov_b64 s[4:5], 0
	s_and_saveexec_b64 s[8:9], vcc
; %bb.385:
	v_cmp_lt_f32_e32 vcc, v18, v20
	s_and_b64 s[4:5], vcc, exec
; %bb.386:
	s_or_b64 exec, exec, s[8:9]
	s_orn2_b64 s[4:5], s[4:5], exec
.LBB35_387:
	s_or_b64 exec, exec, s[0:1]
	s_and_b64 s[4:5], s[4:5], exec
.LBB35_388:
	s_or_b64 exec, exec, s[6:7]
	s_xor_b64 s[0:1], s[4:5], -1
                                        ; implicit-def: $vgpr21
	s_and_saveexec_b64 s[6:7], s[0:1]
	s_xor_b64 s[0:1], exec, s[6:7]
; %bb.389:
	v_lshl_add_u32 v21, v53, 3, v0
	ds_read_b64 v[21:22], v21 offset:8
; %bb.390:
	s_or_saveexec_b64 s[0:1], s[0:1]
	s_waitcnt lgkmcnt(0)
	v_mov_b32_e32 v23, v17
	v_mov_b32_e32 v24, v18
	s_xor_b64 exec, exec, s[0:1]
; %bb.391:
	v_lshl_add_u32 v21, v52, 3, v0
	ds_read_b64 v[23:24], v21 offset:8
	v_mov_b32_e32 v22, v20
	v_mov_b32_e32 v21, v19
; %bb.392:
	s_or_b64 exec, exec, s[0:1]
	v_add_u32_e32 v25, 1, v52
	v_add_u32_e32 v26, 1, v53
	v_cndmask_b32_e64 v54, v52, v25, s[4:5]
	v_cndmask_b32_e64 v55, v26, v53, s[4:5]
	v_cmp_lt_i32_e32 vcc, v54, v50
	s_mov_b64 s[6:7], 0
	s_and_saveexec_b64 s[8:9], vcc
	s_cbranch_execz .LBB35_398
; %bb.393:
	v_cmp_lt_i32_e32 vcc, v55, v48
	s_waitcnt lgkmcnt(0)
	v_cmp_nlt_f32_e64 s[0:1], v23, v21
	s_and_b64 s[10:11], vcc, s[0:1]
	s_mov_b64 s[6:7], -1
	s_and_saveexec_b64 s[0:1], s[10:11]
	s_cbranch_execz .LBB35_397
; %bb.394:
	v_cmp_eq_f32_e32 vcc, v23, v21
	s_mov_b64 s[6:7], 0
	s_and_saveexec_b64 s[10:11], vcc
; %bb.395:
	v_cmp_lt_f32_e32 vcc, v24, v22
	s_and_b64 s[6:7], vcc, exec
; %bb.396:
	s_or_b64 exec, exec, s[10:11]
	s_orn2_b64 s[6:7], s[6:7], exec
.LBB35_397:
	s_or_b64 exec, exec, s[0:1]
	s_and_b64 s[6:7], s[6:7], exec
.LBB35_398:
	s_or_b64 exec, exec, s[8:9]
	s_xor_b64 s[0:1], s[6:7], -1
                                        ; implicit-def: $vgpr25
	s_and_saveexec_b64 s[8:9], s[0:1]
	s_xor_b64 s[0:1], exec, s[8:9]
; %bb.399:
	v_lshl_add_u32 v25, v55, 3, v0
	ds_read_b64 v[25:26], v25 offset:8
; %bb.400:
	s_or_saveexec_b64 s[0:1], s[0:1]
	s_waitcnt lgkmcnt(0)
	v_mov_b32_e32 v27, v23
	v_mov_b32_e32 v28, v24
	s_xor_b64 exec, exec, s[0:1]
; %bb.401:
	v_lshl_add_u32 v25, v54, 3, v0
	ds_read_b64 v[27:28], v25 offset:8
	v_mov_b32_e32 v26, v22
	v_mov_b32_e32 v25, v21
; %bb.402:
	s_or_b64 exec, exec, s[0:1]
	v_add_u32_e32 v29, 1, v54
	v_add_u32_e32 v30, 1, v55
	v_cndmask_b32_e64 v56, v54, v29, s[6:7]
	v_cndmask_b32_e64 v57, v30, v55, s[6:7]
	v_cmp_lt_i32_e32 vcc, v56, v50
	s_mov_b64 s[8:9], 0
	s_and_saveexec_b64 s[10:11], vcc
	s_cbranch_execz .LBB35_408
; %bb.403:
	v_cmp_lt_i32_e32 vcc, v57, v48
	s_waitcnt lgkmcnt(0)
	v_cmp_nlt_f32_e64 s[0:1], v27, v25
	s_and_b64 s[12:13], vcc, s[0:1]
	s_mov_b64 s[8:9], -1
	s_and_saveexec_b64 s[0:1], s[12:13]
	s_cbranch_execz .LBB35_407
; %bb.404:
	v_cmp_eq_f32_e32 vcc, v27, v25
	s_mov_b64 s[8:9], 0
	s_and_saveexec_b64 s[12:13], vcc
; %bb.405:
	v_cmp_lt_f32_e32 vcc, v28, v26
	s_and_b64 s[8:9], vcc, exec
; %bb.406:
	s_or_b64 exec, exec, s[12:13]
	s_orn2_b64 s[8:9], s[8:9], exec
.LBB35_407:
	s_or_b64 exec, exec, s[0:1]
	s_and_b64 s[8:9], s[8:9], exec
.LBB35_408:
	s_or_b64 exec, exec, s[10:11]
	s_xor_b64 s[0:1], s[8:9], -1
                                        ; implicit-def: $vgpr29
	s_and_saveexec_b64 s[10:11], s[0:1]
	s_xor_b64 s[0:1], exec, s[10:11]
; %bb.409:
	v_lshl_add_u32 v29, v57, 3, v0
	ds_read_b64 v[29:30], v29 offset:8
; %bb.410:
	s_or_saveexec_b64 s[0:1], s[0:1]
	s_waitcnt lgkmcnt(0)
	v_mov_b32_e32 v31, v27
	v_mov_b32_e32 v32, v28
	s_xor_b64 exec, exec, s[0:1]
; %bb.411:
	v_lshl_add_u32 v29, v56, 3, v0
	ds_read_b64 v[31:32], v29 offset:8
	v_mov_b32_e32 v30, v26
	v_mov_b32_e32 v29, v25
; %bb.412:
	s_or_b64 exec, exec, s[0:1]
	v_add_u32_e32 v33, 1, v56
	v_add_u32_e32 v34, 1, v57
	v_cndmask_b32_e64 v58, v56, v33, s[8:9]
	v_cndmask_b32_e64 v59, v34, v57, s[8:9]
	v_cmp_lt_i32_e32 vcc, v58, v50
	s_mov_b64 s[10:11], 0
	s_and_saveexec_b64 s[12:13], vcc
	s_cbranch_execz .LBB35_418
; %bb.413:
	v_cmp_lt_i32_e32 vcc, v59, v48
	s_waitcnt lgkmcnt(0)
	v_cmp_nlt_f32_e64 s[0:1], v31, v29
	s_and_b64 s[14:15], vcc, s[0:1]
	s_mov_b64 s[10:11], -1
	s_and_saveexec_b64 s[0:1], s[14:15]
	s_cbranch_execz .LBB35_417
; %bb.414:
	v_cmp_eq_f32_e32 vcc, v31, v29
	s_mov_b64 s[10:11], 0
	s_and_saveexec_b64 s[14:15], vcc
; %bb.415:
	v_cmp_lt_f32_e32 vcc, v32, v30
	s_and_b64 s[10:11], vcc, exec
; %bb.416:
	s_or_b64 exec, exec, s[14:15]
	s_orn2_b64 s[10:11], s[10:11], exec
.LBB35_417:
	s_or_b64 exec, exec, s[0:1]
	s_and_b64 s[10:11], s[10:11], exec
.LBB35_418:
	s_or_b64 exec, exec, s[12:13]
	s_xor_b64 s[0:1], s[10:11], -1
                                        ; implicit-def: $vgpr33
	s_and_saveexec_b64 s[12:13], s[0:1]
	s_xor_b64 s[0:1], exec, s[12:13]
; %bb.419:
	v_lshl_add_u32 v33, v59, 3, v0
	ds_read_b64 v[33:34], v33 offset:8
; %bb.420:
	s_or_saveexec_b64 s[0:1], s[0:1]
	s_waitcnt lgkmcnt(0)
	v_mov_b32_e32 v35, v31
	v_mov_b32_e32 v36, v32
	s_xor_b64 exec, exec, s[0:1]
; %bb.421:
	v_lshl_add_u32 v33, v58, 3, v0
	ds_read_b64 v[35:36], v33 offset:8
	v_mov_b32_e32 v34, v30
	v_mov_b32_e32 v33, v29
; %bb.422:
	s_or_b64 exec, exec, s[0:1]
	v_add_u32_e32 v37, 1, v58
	v_add_u32_e32 v38, 1, v59
	v_cndmask_b32_e64 v60, v58, v37, s[10:11]
	v_cndmask_b32_e64 v61, v38, v59, s[10:11]
	v_cmp_lt_i32_e32 vcc, v60, v50
	s_mov_b64 s[12:13], 0
	s_and_saveexec_b64 s[14:15], vcc
	s_cbranch_execz .LBB35_428
; %bb.423:
	v_cmp_lt_i32_e32 vcc, v61, v48
	s_waitcnt lgkmcnt(0)
	v_cmp_nlt_f32_e64 s[0:1], v35, v33
	s_and_b64 s[16:17], vcc, s[0:1]
	s_mov_b64 s[12:13], -1
	s_and_saveexec_b64 s[0:1], s[16:17]
	s_cbranch_execz .LBB35_427
; %bb.424:
	v_cmp_eq_f32_e32 vcc, v35, v33
	s_mov_b64 s[12:13], 0
	s_and_saveexec_b64 s[16:17], vcc
; %bb.425:
	v_cmp_lt_f32_e32 vcc, v36, v34
	s_and_b64 s[12:13], vcc, exec
; %bb.426:
	s_or_b64 exec, exec, s[16:17]
	s_orn2_b64 s[12:13], s[12:13], exec
.LBB35_427:
	s_or_b64 exec, exec, s[0:1]
	s_and_b64 s[12:13], s[12:13], exec
.LBB35_428:
	s_or_b64 exec, exec, s[14:15]
	s_xor_b64 s[0:1], s[12:13], -1
                                        ; implicit-def: $vgpr37
	s_and_saveexec_b64 s[14:15], s[0:1]
	s_xor_b64 s[0:1], exec, s[14:15]
; %bb.429:
	v_lshl_add_u32 v37, v61, 3, v0
	ds_read_b64 v[37:38], v37 offset:8
; %bb.430:
	s_or_saveexec_b64 s[0:1], s[0:1]
	s_waitcnt lgkmcnt(0)
	v_mov_b32_e32 v39, v35
	v_mov_b32_e32 v40, v36
	s_xor_b64 exec, exec, s[0:1]
; %bb.431:
	v_lshl_add_u32 v37, v60, 3, v0
	ds_read_b64 v[39:40], v37 offset:8
	v_mov_b32_e32 v38, v34
	v_mov_b32_e32 v37, v33
; %bb.432:
	s_or_b64 exec, exec, s[0:1]
	v_add_u32_e32 v41, 1, v60
	v_add_u32_e32 v42, 1, v61
	v_cndmask_b32_e64 v62, v60, v41, s[12:13]
	v_cndmask_b32_e64 v63, v42, v61, s[12:13]
	v_cmp_lt_i32_e32 vcc, v62, v50
	s_mov_b64 s[14:15], 0
	s_and_saveexec_b64 s[16:17], vcc
	s_cbranch_execz .LBB35_438
; %bb.433:
	v_cmp_lt_i32_e32 vcc, v63, v48
	s_waitcnt lgkmcnt(0)
	v_cmp_nlt_f32_e64 s[0:1], v39, v37
	s_and_b64 s[18:19], vcc, s[0:1]
	s_mov_b64 s[14:15], -1
	s_and_saveexec_b64 s[0:1], s[18:19]
	s_cbranch_execz .LBB35_437
; %bb.434:
	v_cmp_eq_f32_e32 vcc, v39, v37
	s_mov_b64 s[14:15], 0
	s_and_saveexec_b64 s[18:19], vcc
; %bb.435:
	v_cmp_lt_f32_e32 vcc, v40, v38
	s_and_b64 s[14:15], vcc, exec
; %bb.436:
	s_or_b64 exec, exec, s[18:19]
	s_orn2_b64 s[14:15], s[14:15], exec
.LBB35_437:
	s_or_b64 exec, exec, s[0:1]
	s_and_b64 s[14:15], s[14:15], exec
.LBB35_438:
	s_or_b64 exec, exec, s[16:17]
	s_xor_b64 s[0:1], s[14:15], -1
                                        ; implicit-def: $vgpr41
	s_and_saveexec_b64 s[16:17], s[0:1]
	s_xor_b64 s[0:1], exec, s[16:17]
; %bb.439:
	v_lshl_add_u32 v41, v63, 3, v0
	ds_read_b64 v[41:42], v41 offset:8
; %bb.440:
	s_or_saveexec_b64 s[0:1], s[0:1]
	s_waitcnt lgkmcnt(0)
	v_mov_b32_e32 v43, v39
	v_mov_b32_e32 v44, v40
	s_xor_b64 exec, exec, s[0:1]
; %bb.441:
	v_lshl_add_u32 v41, v62, 3, v0
	ds_read_b64 v[43:44], v41 offset:8
	v_mov_b32_e32 v42, v38
	v_mov_b32_e32 v41, v37
; %bb.442:
	s_or_b64 exec, exec, s[0:1]
	v_add_u32_e32 v64, 1, v62
	v_add_u32_e32 v65, 1, v63
	v_cndmask_b32_e64 v64, v62, v64, s[14:15]
	v_cndmask_b32_e64 v65, v65, v63, s[14:15]
	v_cmp_lt_i32_e32 vcc, v64, v50
	s_mov_b64 s[0:1], 0
	s_and_saveexec_b64 s[16:17], vcc
	s_cbranch_execz .LBB35_448
; %bb.443:
	v_cmp_lt_i32_e32 vcc, v65, v48
	s_waitcnt lgkmcnt(0)
	v_cmp_nlt_f32_e64 s[0:1], v43, v41
	s_and_b64 s[20:21], vcc, s[0:1]
	s_mov_b64 s[18:19], -1
	s_and_saveexec_b64 s[0:1], s[20:21]
	s_cbranch_execz .LBB35_447
; %bb.444:
	v_cmp_eq_f32_e32 vcc, v43, v41
	s_mov_b64 s[18:19], 0
	s_and_saveexec_b64 s[20:21], vcc
; %bb.445:
	v_cmp_lt_f32_e32 vcc, v44, v42
	s_and_b64 s[18:19], vcc, exec
; %bb.446:
	s_or_b64 exec, exec, s[20:21]
	s_orn2_b64 s[18:19], s[18:19], exec
.LBB35_447:
	s_or_b64 exec, exec, s[0:1]
	s_and_b64 s[0:1], s[18:19], exec
.LBB35_448:
	s_or_b64 exec, exec, s[16:17]
	v_cndmask_b32_e64 v25, v25, v27, s[8:9]
	v_cndmask_b32_e64 v27, v57, v56, s[8:9]
	;; [unrolled: 1-line block ×16, first 2 shown]
	; wave barrier
	ds_write2_b64 v47, v[5:6], v[11:12] offset1:1
	ds_write2_b64 v47, v[3:4], v[9:10] offset0:2 offset1:3
	v_lshl_add_u32 v3, v20, 2, v0
	v_lshl_add_u32 v4, v19, 2, v0
	;; [unrolled: 1-line block ×4, first 2 shown]
	; wave barrier
	v_lshl_add_u32 v19, v31, 2, v0
	v_lshl_add_u32 v20, v35, 2, v0
	;; [unrolled: 1-line block ×4, first 2 shown]
	ds_read_b32 v5, v3
	ds_read_b32 v6, v4
	;; [unrolled: 1-line block ×8, first 2 shown]
	v_cndmask_b32_e64 v13, v15, v13, s[2:3]
	v_cndmask_b32_e64 v14, v16, v14, s[2:3]
	s_waitcnt lgkmcnt(10)
	v_cndmask_b32_e64 v15, v41, v43, s[0:1]
	v_cndmask_b32_e64 v16, v42, v44, s[0:1]
	s_movk_i32 s0, 0x80
	v_cndmask_b32_e64 v38, v38, v40, s[14:15]
	v_cndmask_b32_e64 v34, v34, v36, s[12:13]
	;; [unrolled: 1-line block ×4, first 2 shown]
	; wave barrier
	ds_write2_b64 v46, v[13:14], v[17:18] offset1:1
	ds_write2_b64 v46, v[21:22], v[25:26] offset0:2 offset1:3
	ds_write2_b64 v46, v[29:30], v[33:34] offset0:4 offset1:5
	ds_write2_b64 v46, v[37:38], v[15:16] offset0:6 offset1:7
	v_sub_u32_e64 v48, v45, s0 clamp
	v_min_i32_e32 v13, 0x80, v45
	v_cmp_lt_u32_e32 vcc, v48, v13
	; wave barrier
	s_and_saveexec_b64 s[0:1], vcc
	s_cbranch_execz .LBB35_456
; %bb.449:
	s_mov_b64 s[2:3], 0
                                        ; implicit-def: $sgpr4_sgpr5
	s_branch .LBB35_452
.LBB35_450:                             ;   in Loop: Header=BB35_452 Depth=1
	s_or_b64 exec, exec, s[10:11]
	s_andn2_b64 s[4:5], s[4:5], exec
	s_and_b64 s[8:9], s[8:9], exec
	s_or_b64 s[4:5], s[4:5], s[8:9]
.LBB35_451:                             ;   in Loop: Header=BB35_452 Depth=1
	s_or_b64 exec, exec, s[6:7]
	v_add_u32_e32 v15, 1, v14
	v_cndmask_b32_e64 v13, v13, v14, s[4:5]
	v_cndmask_b32_e64 v48, v15, v48, s[4:5]
	v_cmp_ge_i32_e32 vcc, v48, v13
	s_or_b64 s[2:3], vcc, s[2:3]
	s_andn2_b64 exec, exec, s[2:3]
	s_cbranch_execz .LBB35_455
.LBB35_452:                             ; =>This Inner Loop Header: Depth=1
	v_sub_u32_e32 v14, v13, v48
	v_lshrrev_b32_e32 v14, 1, v14
	v_add_u32_e32 v14, v14, v48
	v_lshl_add_u32 v15, v14, 3, v0
	v_not_b32_e32 v16, v14
	v_lshl_add_u32 v16, v16, 3, v46
	ds_read_b32 v17, v15
	ds_read_b32 v18, v16 offset:1024
	s_or_b64 s[4:5], s[4:5], exec
	s_waitcnt lgkmcnt(0)
	v_cmp_nlt_f32_e32 vcc, v18, v17
	s_and_saveexec_b64 s[6:7], vcc
	s_cbranch_execz .LBB35_451
; %bb.453:                              ;   in Loop: Header=BB35_452 Depth=1
	v_cmp_eq_f32_e32 vcc, v18, v17
	s_mov_b64 s[8:9], 0
	s_and_saveexec_b64 s[10:11], vcc
	s_cbranch_execz .LBB35_450
; %bb.454:                              ;   in Loop: Header=BB35_452 Depth=1
	ds_read_b32 v16, v16 offset:1028
	ds_read_b32 v15, v15 offset:4
	s_waitcnt lgkmcnt(0)
	v_cmp_lt_f32_e32 vcc, v16, v15
	s_and_b64 s[8:9], vcc, exec
	s_branch .LBB35_450
.LBB35_455:
	s_or_b64 exec, exec, s[2:3]
.LBB35_456:
	s_or_b64 exec, exec, s[0:1]
	v_sub_u32_e32 v17, v45, v48
	v_lshl_add_u32 v21, v17, 3, v0
	ds_read_b64 v[13:14], v21 offset:1024
	v_lshl_add_u32 v20, v48, 3, v0
	ds_read_b64 v[15:16], v20
	v_add_u32_e32 v45, 0x80, v17
	s_movk_i32 s1, 0x100
	s_movk_i32 s0, 0x80
	s_waitcnt lgkmcnt(1)
	v_mov_b32_e32 v17, v13
	v_mov_b32_e32 v18, v14
	v_cmp_gt_i32_e32 vcc, s1, v45
	s_mov_b64 s[2:3], 0
	s_and_saveexec_b64 s[4:5], vcc
	s_cbranch_execz .LBB35_462
; %bb.457:
	v_cmp_gt_i32_e32 vcc, s0, v48
	s_waitcnt lgkmcnt(0)
	v_cmp_nlt_f32_e64 s[0:1], v13, v15
	s_and_b64 s[6:7], vcc, s[0:1]
	s_mov_b64 s[2:3], -1
	s_and_saveexec_b64 s[0:1], s[6:7]
	s_cbranch_execz .LBB35_461
; %bb.458:
	v_cmp_eq_f32_e32 vcc, v13, v15
	s_mov_b64 s[2:3], 0
	s_and_saveexec_b64 s[6:7], vcc
; %bb.459:
	v_cmp_lt_f32_e32 vcc, v14, v16
	s_and_b64 s[2:3], vcc, exec
; %bb.460:
	s_or_b64 exec, exec, s[6:7]
	s_orn2_b64 s[2:3], s[2:3], exec
.LBB35_461:
	s_or_b64 exec, exec, s[0:1]
	s_and_b64 s[2:3], s[2:3], exec
.LBB35_462:
	s_or_b64 exec, exec, s[4:5]
	s_xor_b64 s[0:1], s[2:3], -1
                                        ; implicit-def: $vgpr19
	s_and_saveexec_b64 s[4:5], s[0:1]
	s_xor_b64 s[0:1], exec, s[4:5]
; %bb.463:
	ds_read_b64 v[19:20], v20 offset:8
                                        ; implicit-def: $vgpr21
; %bb.464:
	s_andn2_saveexec_b64 s[0:1], s[0:1]
	s_cbranch_execz .LBB35_466
; %bb.465:
	ds_read_b64 v[17:18], v21 offset:1032
	s_waitcnt lgkmcnt(1)
	v_mov_b32_e32 v20, v16
	v_mov_b32_e32 v19, v15
.LBB35_466:
	s_or_b64 exec, exec, s[0:1]
	v_add_u32_e32 v21, 1, v45
	v_add_u32_e32 v22, 1, v48
	v_cndmask_b32_e64 v46, v45, v21, s[2:3]
	s_movk_i32 s0, 0x100
	v_cndmask_b32_e64 v49, v22, v48, s[2:3]
	v_cmp_gt_i32_e32 vcc, s0, v46
	s_mov_b64 s[4:5], 0
	s_and_saveexec_b64 s[6:7], vcc
	s_cbranch_execz .LBB35_472
; %bb.467:
	s_movk_i32 s0, 0x80
	v_cmp_gt_i32_e32 vcc, s0, v49
	s_waitcnt lgkmcnt(0)
	v_cmp_nlt_f32_e64 s[0:1], v17, v19
	s_and_b64 s[8:9], vcc, s[0:1]
	s_mov_b64 s[4:5], -1
	s_and_saveexec_b64 s[0:1], s[8:9]
	s_cbranch_execz .LBB35_471
; %bb.468:
	v_cmp_eq_f32_e32 vcc, v17, v19
	s_mov_b64 s[4:5], 0
	s_and_saveexec_b64 s[8:9], vcc
; %bb.469:
	v_cmp_lt_f32_e32 vcc, v18, v20
	s_and_b64 s[4:5], vcc, exec
; %bb.470:
	s_or_b64 exec, exec, s[8:9]
	s_orn2_b64 s[4:5], s[4:5], exec
.LBB35_471:
	s_or_b64 exec, exec, s[0:1]
	s_and_b64 s[4:5], s[4:5], exec
.LBB35_472:
	s_or_b64 exec, exec, s[6:7]
	s_xor_b64 s[0:1], s[4:5], -1
                                        ; implicit-def: $vgpr21
	s_and_saveexec_b64 s[6:7], s[0:1]
	s_xor_b64 s[0:1], exec, s[6:7]
; %bb.473:
	v_lshl_add_u32 v21, v49, 3, v0
	ds_read_b64 v[21:22], v21 offset:8
; %bb.474:
	s_or_saveexec_b64 s[0:1], s[0:1]
	s_waitcnt lgkmcnt(0)
	v_mov_b32_e32 v23, v17
	v_mov_b32_e32 v24, v18
	s_xor_b64 exec, exec, s[0:1]
; %bb.475:
	v_lshl_add_u32 v21, v46, 3, v0
	ds_read_b64 v[23:24], v21 offset:8
	v_mov_b32_e32 v22, v20
	v_mov_b32_e32 v21, v19
; %bb.476:
	s_or_b64 exec, exec, s[0:1]
	v_add_u32_e32 v25, 1, v46
	v_add_u32_e32 v26, 1, v49
	v_cndmask_b32_e64 v50, v46, v25, s[4:5]
	s_movk_i32 s0, 0x100
	v_cndmask_b32_e64 v51, v26, v49, s[4:5]
	v_cmp_gt_i32_e32 vcc, s0, v50
	s_mov_b64 s[6:7], 0
	s_and_saveexec_b64 s[8:9], vcc
	s_cbranch_execz .LBB35_482
; %bb.477:
	s_movk_i32 s0, 0x80
	v_cmp_gt_i32_e32 vcc, s0, v51
	s_waitcnt lgkmcnt(0)
	v_cmp_nlt_f32_e64 s[0:1], v23, v21
	s_and_b64 s[10:11], vcc, s[0:1]
	s_mov_b64 s[6:7], -1
	s_and_saveexec_b64 s[0:1], s[10:11]
	s_cbranch_execz .LBB35_481
; %bb.478:
	v_cmp_eq_f32_e32 vcc, v23, v21
	s_mov_b64 s[6:7], 0
	s_and_saveexec_b64 s[10:11], vcc
; %bb.479:
	v_cmp_lt_f32_e32 vcc, v24, v22
	s_and_b64 s[6:7], vcc, exec
; %bb.480:
	s_or_b64 exec, exec, s[10:11]
	s_orn2_b64 s[6:7], s[6:7], exec
.LBB35_481:
	s_or_b64 exec, exec, s[0:1]
	s_and_b64 s[6:7], s[6:7], exec
.LBB35_482:
	s_or_b64 exec, exec, s[8:9]
	s_xor_b64 s[0:1], s[6:7], -1
                                        ; implicit-def: $vgpr25
	s_and_saveexec_b64 s[8:9], s[0:1]
	s_xor_b64 s[0:1], exec, s[8:9]
; %bb.483:
	v_lshl_add_u32 v25, v51, 3, v0
	ds_read_b64 v[25:26], v25 offset:8
; %bb.484:
	s_or_saveexec_b64 s[0:1], s[0:1]
	s_waitcnt lgkmcnt(0)
	v_mov_b32_e32 v27, v23
	v_mov_b32_e32 v28, v24
	s_xor_b64 exec, exec, s[0:1]
; %bb.485:
	v_lshl_add_u32 v25, v50, 3, v0
	ds_read_b64 v[27:28], v25 offset:8
	v_mov_b32_e32 v26, v22
	v_mov_b32_e32 v25, v21
; %bb.486:
	s_or_b64 exec, exec, s[0:1]
	v_add_u32_e32 v29, 1, v50
	v_add_u32_e32 v30, 1, v51
	v_cndmask_b32_e64 v52, v50, v29, s[6:7]
	s_movk_i32 s0, 0x100
	v_cndmask_b32_e64 v53, v30, v51, s[6:7]
	v_cmp_gt_i32_e32 vcc, s0, v52
	s_mov_b64 s[8:9], 0
	s_and_saveexec_b64 s[10:11], vcc
	s_cbranch_execz .LBB35_492
; %bb.487:
	s_movk_i32 s0, 0x80
	v_cmp_gt_i32_e32 vcc, s0, v53
	s_waitcnt lgkmcnt(0)
	v_cmp_nlt_f32_e64 s[0:1], v27, v25
	s_and_b64 s[12:13], vcc, s[0:1]
	s_mov_b64 s[8:9], -1
	s_and_saveexec_b64 s[0:1], s[12:13]
	s_cbranch_execz .LBB35_491
; %bb.488:
	v_cmp_eq_f32_e32 vcc, v27, v25
	s_mov_b64 s[8:9], 0
	s_and_saveexec_b64 s[12:13], vcc
; %bb.489:
	v_cmp_lt_f32_e32 vcc, v28, v26
	s_and_b64 s[8:9], vcc, exec
; %bb.490:
	s_or_b64 exec, exec, s[12:13]
	s_orn2_b64 s[8:9], s[8:9], exec
.LBB35_491:
	s_or_b64 exec, exec, s[0:1]
	s_and_b64 s[8:9], s[8:9], exec
.LBB35_492:
	s_or_b64 exec, exec, s[10:11]
	s_xor_b64 s[0:1], s[8:9], -1
                                        ; implicit-def: $vgpr29
	s_and_saveexec_b64 s[10:11], s[0:1]
	s_xor_b64 s[0:1], exec, s[10:11]
; %bb.493:
	v_lshl_add_u32 v29, v53, 3, v0
	ds_read_b64 v[29:30], v29 offset:8
; %bb.494:
	s_or_saveexec_b64 s[0:1], s[0:1]
	s_waitcnt lgkmcnt(0)
	v_mov_b32_e32 v31, v27
	v_mov_b32_e32 v32, v28
	s_xor_b64 exec, exec, s[0:1]
; %bb.495:
	v_lshl_add_u32 v29, v52, 3, v0
	ds_read_b64 v[31:32], v29 offset:8
	v_mov_b32_e32 v30, v26
	v_mov_b32_e32 v29, v25
; %bb.496:
	s_or_b64 exec, exec, s[0:1]
	v_add_u32_e32 v33, 1, v52
	v_add_u32_e32 v34, 1, v53
	v_cndmask_b32_e64 v54, v52, v33, s[8:9]
	s_movk_i32 s0, 0x100
	v_cndmask_b32_e64 v55, v34, v53, s[8:9]
	v_cmp_gt_i32_e32 vcc, s0, v54
	s_mov_b64 s[10:11], 0
	s_and_saveexec_b64 s[12:13], vcc
	s_cbranch_execz .LBB35_502
; %bb.497:
	s_movk_i32 s0, 0x80
	v_cmp_gt_i32_e32 vcc, s0, v55
	s_waitcnt lgkmcnt(0)
	v_cmp_nlt_f32_e64 s[0:1], v31, v29
	s_and_b64 s[14:15], vcc, s[0:1]
	s_mov_b64 s[10:11], -1
	s_and_saveexec_b64 s[0:1], s[14:15]
	s_cbranch_execz .LBB35_501
; %bb.498:
	v_cmp_eq_f32_e32 vcc, v31, v29
	s_mov_b64 s[10:11], 0
	s_and_saveexec_b64 s[14:15], vcc
; %bb.499:
	v_cmp_lt_f32_e32 vcc, v32, v30
	s_and_b64 s[10:11], vcc, exec
; %bb.500:
	s_or_b64 exec, exec, s[14:15]
	s_orn2_b64 s[10:11], s[10:11], exec
.LBB35_501:
	s_or_b64 exec, exec, s[0:1]
	s_and_b64 s[10:11], s[10:11], exec
.LBB35_502:
	s_or_b64 exec, exec, s[12:13]
	s_xor_b64 s[0:1], s[10:11], -1
                                        ; implicit-def: $vgpr33
	s_and_saveexec_b64 s[12:13], s[0:1]
	s_xor_b64 s[0:1], exec, s[12:13]
; %bb.503:
	v_lshl_add_u32 v33, v55, 3, v0
	ds_read_b64 v[33:34], v33 offset:8
; %bb.504:
	s_or_saveexec_b64 s[0:1], s[0:1]
	s_waitcnt lgkmcnt(0)
	v_mov_b32_e32 v35, v31
	v_mov_b32_e32 v36, v32
	s_xor_b64 exec, exec, s[0:1]
; %bb.505:
	v_lshl_add_u32 v33, v54, 3, v0
	ds_read_b64 v[35:36], v33 offset:8
	v_mov_b32_e32 v34, v30
	v_mov_b32_e32 v33, v29
; %bb.506:
	s_or_b64 exec, exec, s[0:1]
	v_add_u32_e32 v37, 1, v54
	v_add_u32_e32 v38, 1, v55
	v_cndmask_b32_e64 v56, v54, v37, s[10:11]
	s_movk_i32 s0, 0x100
	v_cndmask_b32_e64 v57, v38, v55, s[10:11]
	v_cmp_gt_i32_e32 vcc, s0, v56
	s_mov_b64 s[12:13], 0
	s_and_saveexec_b64 s[14:15], vcc
	s_cbranch_execz .LBB35_512
; %bb.507:
	s_movk_i32 s0, 0x80
	v_cmp_gt_i32_e32 vcc, s0, v57
	s_waitcnt lgkmcnt(0)
	v_cmp_nlt_f32_e64 s[0:1], v35, v33
	s_and_b64 s[16:17], vcc, s[0:1]
	s_mov_b64 s[12:13], -1
	s_and_saveexec_b64 s[0:1], s[16:17]
	s_cbranch_execz .LBB35_511
; %bb.508:
	v_cmp_eq_f32_e32 vcc, v35, v33
	s_mov_b64 s[12:13], 0
	s_and_saveexec_b64 s[16:17], vcc
; %bb.509:
	v_cmp_lt_f32_e32 vcc, v36, v34
	s_and_b64 s[12:13], vcc, exec
; %bb.510:
	s_or_b64 exec, exec, s[16:17]
	s_orn2_b64 s[12:13], s[12:13], exec
.LBB35_511:
	s_or_b64 exec, exec, s[0:1]
	s_and_b64 s[12:13], s[12:13], exec
.LBB35_512:
	s_or_b64 exec, exec, s[14:15]
	s_xor_b64 s[0:1], s[12:13], -1
                                        ; implicit-def: $vgpr37
	s_and_saveexec_b64 s[14:15], s[0:1]
	s_xor_b64 s[0:1], exec, s[14:15]
; %bb.513:
	v_lshl_add_u32 v37, v57, 3, v0
	ds_read_b64 v[37:38], v37 offset:8
; %bb.514:
	s_or_saveexec_b64 s[0:1], s[0:1]
	s_waitcnt lgkmcnt(0)
	v_mov_b32_e32 v39, v35
	v_mov_b32_e32 v40, v36
	s_xor_b64 exec, exec, s[0:1]
; %bb.515:
	v_lshl_add_u32 v37, v56, 3, v0
	ds_read_b64 v[39:40], v37 offset:8
	v_mov_b32_e32 v38, v34
	v_mov_b32_e32 v37, v33
; %bb.516:
	s_or_b64 exec, exec, s[0:1]
	v_add_u32_e32 v41, 1, v56
	v_add_u32_e32 v42, 1, v57
	v_cndmask_b32_e64 v58, v56, v41, s[12:13]
	s_movk_i32 s0, 0x100
	v_cndmask_b32_e64 v59, v42, v57, s[12:13]
	v_cmp_gt_i32_e32 vcc, s0, v58
	s_mov_b64 s[14:15], 0
	s_and_saveexec_b64 s[16:17], vcc
	s_cbranch_execz .LBB35_522
; %bb.517:
	s_movk_i32 s0, 0x80
	v_cmp_gt_i32_e32 vcc, s0, v59
	s_waitcnt lgkmcnt(0)
	v_cmp_nlt_f32_e64 s[0:1], v39, v37
	s_and_b64 s[18:19], vcc, s[0:1]
	s_mov_b64 s[14:15], -1
	s_and_saveexec_b64 s[0:1], s[18:19]
	s_cbranch_execz .LBB35_521
; %bb.518:
	v_cmp_eq_f32_e32 vcc, v39, v37
	s_mov_b64 s[14:15], 0
	s_and_saveexec_b64 s[18:19], vcc
; %bb.519:
	v_cmp_lt_f32_e32 vcc, v40, v38
	s_and_b64 s[14:15], vcc, exec
; %bb.520:
	s_or_b64 exec, exec, s[18:19]
	s_orn2_b64 s[14:15], s[14:15], exec
.LBB35_521:
	s_or_b64 exec, exec, s[0:1]
	s_and_b64 s[14:15], s[14:15], exec
.LBB35_522:
	s_or_b64 exec, exec, s[16:17]
	s_xor_b64 s[0:1], s[14:15], -1
                                        ; implicit-def: $vgpr41
	s_and_saveexec_b64 s[16:17], s[0:1]
	s_xor_b64 s[0:1], exec, s[16:17]
; %bb.523:
	v_lshl_add_u32 v41, v59, 3, v0
	ds_read_b64 v[41:42], v41 offset:8
; %bb.524:
	s_or_saveexec_b64 s[0:1], s[0:1]
	s_waitcnt lgkmcnt(0)
	v_mov_b32_e32 v43, v39
	v_mov_b32_e32 v44, v40
	s_xor_b64 exec, exec, s[0:1]
; %bb.525:
	v_lshl_add_u32 v41, v58, 3, v0
	ds_read_b64 v[43:44], v41 offset:8
	v_mov_b32_e32 v42, v38
	v_mov_b32_e32 v41, v37
; %bb.526:
	s_or_b64 exec, exec, s[0:1]
	v_add_u32_e32 v60, 1, v58
	v_add_u32_e32 v61, 1, v59
	v_cndmask_b32_e64 v60, v58, v60, s[14:15]
	s_movk_i32 s0, 0x100
	v_cndmask_b32_e64 v61, v61, v59, s[14:15]
	v_cmp_gt_i32_e32 vcc, s0, v60
	s_mov_b64 s[0:1], 0
	s_and_saveexec_b64 s[16:17], vcc
	s_cbranch_execz .LBB35_532
; %bb.527:
	s_movk_i32 s0, 0x80
	v_cmp_gt_i32_e32 vcc, s0, v61
	s_waitcnt lgkmcnt(0)
	v_cmp_nlt_f32_e64 s[0:1], v43, v41
	s_and_b64 s[20:21], vcc, s[0:1]
	s_mov_b64 s[18:19], -1
	s_and_saveexec_b64 s[0:1], s[20:21]
	s_cbranch_execz .LBB35_531
; %bb.528:
	v_cmp_eq_f32_e32 vcc, v43, v41
	s_mov_b64 s[18:19], 0
	s_and_saveexec_b64 s[20:21], vcc
; %bb.529:
	v_cmp_lt_f32_e32 vcc, v44, v42
	s_and_b64 s[18:19], vcc, exec
; %bb.530:
	s_or_b64 exec, exec, s[20:21]
	s_orn2_b64 s[18:19], s[18:19], exec
.LBB35_531:
	s_or_b64 exec, exec, s[0:1]
	s_and_b64 s[0:1], s[18:19], exec
.LBB35_532:
	s_or_b64 exec, exec, s[16:17]
	v_cndmask_b32_e64 v25, v25, v27, s[8:9]
	v_cndmask_b32_e64 v24, v22, v24, s[6:7]
	;; [unrolled: 1-line block ×16, first 2 shown]
	; wave barrier
	ds_write2_b64 v47, v[5:6], v[11:12] offset1:1
	ds_write2_b64 v47, v[3:4], v[9:10] offset0:2 offset1:3
	v_lshl_add_u32 v3, v27, 2, v0
	v_lshl_add_u32 v4, v22, 2, v0
	;; [unrolled: 1-line block ×7, first 2 shown]
	; wave barrier
	v_lshl_add_u32 v0, v28, 2, v0
	ds_read_b32 v3, v3
	ds_read_b32 v4, v4
	ds_read_b32 v5, v5
	ds_read_b32 v6, v6
	ds_read_b32 v9, v9
	ds_read_b32 v10, v10
	ds_read_b32 v11, v11
	ds_read_b32 v12, v0
	v_cndmask_b32_e64 v38, v38, v40, s[14:15]
	v_cndmask_b32_e64 v37, v37, v39, s[14:15]
	;; [unrolled: 1-line block ×6, first 2 shown]
	s_waitcnt lgkmcnt(10)
	v_cndmask_b32_e64 v39, v41, v43, s[0:1]
	v_cndmask_b32_e64 v40, v42, v44, s[0:1]
	global_store_dwordx4 v[7:8], v[15:18], off
	global_store_dwordx4 v[7:8], v[23:26], off offset:16
	global_store_dwordx4 v[7:8], v[31:34], off offset:32
	;; [unrolled: 1-line block ×3, first 2 shown]
	s_waitcnt lgkmcnt(4)
	global_store_dwordx4 v[1:2], v[3:6], off
	s_waitcnt lgkmcnt(0)
	global_store_dwordx4 v[1:2], v[9:12], off offset:16
	s_endpgm
	.section	.rodata,"a",@progbits
	.p2align	6, 0x0
	.amdhsa_kernel _Z21sort_keys_values_fullILj256ELj32ELj8ELb0EN10test_utils16custom_test_typeIfEEiNS0_4lessEEvPT3_PT4_T5_
		.amdhsa_group_segment_fixed_size 16448
		.amdhsa_private_segment_fixed_size 0
		.amdhsa_kernarg_size 20
		.amdhsa_user_sgpr_count 6
		.amdhsa_user_sgpr_private_segment_buffer 1
		.amdhsa_user_sgpr_dispatch_ptr 0
		.amdhsa_user_sgpr_queue_ptr 0
		.amdhsa_user_sgpr_kernarg_segment_ptr 1
		.amdhsa_user_sgpr_dispatch_id 0
		.amdhsa_user_sgpr_flat_scratch_init 0
		.amdhsa_user_sgpr_private_segment_size 0
		.amdhsa_uses_dynamic_stack 0
		.amdhsa_system_sgpr_private_segment_wavefront_offset 0
		.amdhsa_system_sgpr_workgroup_id_x 1
		.amdhsa_system_sgpr_workgroup_id_y 0
		.amdhsa_system_sgpr_workgroup_id_z 0
		.amdhsa_system_sgpr_workgroup_info 0
		.amdhsa_system_vgpr_workitem_id 0
		.amdhsa_next_free_vgpr 67
		.amdhsa_next_free_sgpr 98
		.amdhsa_reserve_vcc 1
		.amdhsa_reserve_flat_scratch 0
		.amdhsa_float_round_mode_32 0
		.amdhsa_float_round_mode_16_64 0
		.amdhsa_float_denorm_mode_32 3
		.amdhsa_float_denorm_mode_16_64 3
		.amdhsa_dx10_clamp 1
		.amdhsa_ieee_mode 1
		.amdhsa_fp16_overflow 0
		.amdhsa_exception_fp_ieee_invalid_op 0
		.amdhsa_exception_fp_denorm_src 0
		.amdhsa_exception_fp_ieee_div_zero 0
		.amdhsa_exception_fp_ieee_overflow 0
		.amdhsa_exception_fp_ieee_underflow 0
		.amdhsa_exception_fp_ieee_inexact 0
		.amdhsa_exception_int_div_zero 0
	.end_amdhsa_kernel
	.section	.text._Z21sort_keys_values_fullILj256ELj32ELj8ELb0EN10test_utils16custom_test_typeIfEEiNS0_4lessEEvPT3_PT4_T5_,"axG",@progbits,_Z21sort_keys_values_fullILj256ELj32ELj8ELb0EN10test_utils16custom_test_typeIfEEiNS0_4lessEEvPT3_PT4_T5_,comdat
.Lfunc_end35:
	.size	_Z21sort_keys_values_fullILj256ELj32ELj8ELb0EN10test_utils16custom_test_typeIfEEiNS0_4lessEEvPT3_PT4_T5_, .Lfunc_end35-_Z21sort_keys_values_fullILj256ELj32ELj8ELb0EN10test_utils16custom_test_typeIfEEiNS0_4lessEEvPT3_PT4_T5_
                                        ; -- End function
	.set _Z21sort_keys_values_fullILj256ELj32ELj8ELb0EN10test_utils16custom_test_typeIfEEiNS0_4lessEEvPT3_PT4_T5_.num_vgpr, 67
	.set _Z21sort_keys_values_fullILj256ELj32ELj8ELb0EN10test_utils16custom_test_typeIfEEiNS0_4lessEEvPT3_PT4_T5_.num_agpr, 0
	.set _Z21sort_keys_values_fullILj256ELj32ELj8ELb0EN10test_utils16custom_test_typeIfEEiNS0_4lessEEvPT3_PT4_T5_.numbered_sgpr, 22
	.set _Z21sort_keys_values_fullILj256ELj32ELj8ELb0EN10test_utils16custom_test_typeIfEEiNS0_4lessEEvPT3_PT4_T5_.num_named_barrier, 0
	.set _Z21sort_keys_values_fullILj256ELj32ELj8ELb0EN10test_utils16custom_test_typeIfEEiNS0_4lessEEvPT3_PT4_T5_.private_seg_size, 0
	.set _Z21sort_keys_values_fullILj256ELj32ELj8ELb0EN10test_utils16custom_test_typeIfEEiNS0_4lessEEvPT3_PT4_T5_.uses_vcc, 1
	.set _Z21sort_keys_values_fullILj256ELj32ELj8ELb0EN10test_utils16custom_test_typeIfEEiNS0_4lessEEvPT3_PT4_T5_.uses_flat_scratch, 0
	.set _Z21sort_keys_values_fullILj256ELj32ELj8ELb0EN10test_utils16custom_test_typeIfEEiNS0_4lessEEvPT3_PT4_T5_.has_dyn_sized_stack, 0
	.set _Z21sort_keys_values_fullILj256ELj32ELj8ELb0EN10test_utils16custom_test_typeIfEEiNS0_4lessEEvPT3_PT4_T5_.has_recursion, 0
	.set _Z21sort_keys_values_fullILj256ELj32ELj8ELb0EN10test_utils16custom_test_typeIfEEiNS0_4lessEEvPT3_PT4_T5_.has_indirect_call, 0
	.section	.AMDGPU.csdata,"",@progbits
; Kernel info:
; codeLenInByte = 13200
; TotalNumSgprs: 26
; NumVgprs: 67
; ScratchSize: 0
; MemoryBound: 1
; FloatMode: 240
; IeeeMode: 1
; LDSByteSize: 16448 bytes/workgroup (compile time only)
; SGPRBlocks: 12
; VGPRBlocks: 16
; NumSGPRsForWavesPerEU: 102
; NumVGPRsForWavesPerEU: 67
; Occupancy: 3
; WaveLimiterHint : 0
; COMPUTE_PGM_RSRC2:SCRATCH_EN: 0
; COMPUTE_PGM_RSRC2:USER_SGPR: 6
; COMPUTE_PGM_RSRC2:TRAP_HANDLER: 0
; COMPUTE_PGM_RSRC2:TGID_X_EN: 1
; COMPUTE_PGM_RSRC2:TGID_Y_EN: 0
; COMPUTE_PGM_RSRC2:TGID_Z_EN: 0
; COMPUTE_PGM_RSRC2:TIDIG_COMP_CNT: 0
	.section	.text._Z21sort_keys_values_fullILj256ELj32ELj4ELb0EN10test_utils16custom_test_typeIfEEiNS0_4lessEEvPT3_PT4_T5_,"axG",@progbits,_Z21sort_keys_values_fullILj256ELj32ELj4ELb0EN10test_utils16custom_test_typeIfEEiNS0_4lessEEvPT3_PT4_T5_,comdat
	.protected	_Z21sort_keys_values_fullILj256ELj32ELj4ELb0EN10test_utils16custom_test_typeIfEEiNS0_4lessEEvPT3_PT4_T5_ ; -- Begin function _Z21sort_keys_values_fullILj256ELj32ELj4ELb0EN10test_utils16custom_test_typeIfEEiNS0_4lessEEvPT3_PT4_T5_
	.globl	_Z21sort_keys_values_fullILj256ELj32ELj4ELb0EN10test_utils16custom_test_typeIfEEiNS0_4lessEEvPT3_PT4_T5_
	.p2align	8
	.type	_Z21sort_keys_values_fullILj256ELj32ELj4ELb0EN10test_utils16custom_test_typeIfEEiNS0_4lessEEvPT3_PT4_T5_,@function
_Z21sort_keys_values_fullILj256ELj32ELj4ELb0EN10test_utils16custom_test_typeIfEEiNS0_4lessEEvPT3_PT4_T5_: ; @_Z21sort_keys_values_fullILj256ELj32ELj4ELb0EN10test_utils16custom_test_typeIfEEiNS0_4lessEEvPT3_PT4_T5_
; %bb.0:
	s_load_dwordx4 s[8:11], s[4:5], 0x0
	s_lshl_b32 s0, s6, 10
	s_mov_b32 s1, 0
	s_lshl_b64 s[2:3], s[0:1], 3
	v_lshlrev_b32_e32 v19, 5, v0
	s_waitcnt lgkmcnt(0)
	s_add_u32 s2, s8, s2
	s_addc_u32 s3, s9, s3
	s_lshl_b64 s[0:1], s[0:1], 2
	s_add_u32 s4, s10, s0
	global_load_dwordx4 v[9:12], v19, s[2:3] offset:16
	global_load_dwordx4 v[5:8], v19, s[2:3]
	s_addc_u32 s5, s11, s1
	v_lshlrev_b32_e32 v20, 4, v0
	global_load_dwordx4 v[1:4], v20, s[4:5]
	s_waitcnt vmcnt(1)
	v_cmp_lt_f32_e64 s[6:7], v7, v5
	v_cmp_nlt_f32_e32 vcc, v7, v5
	s_and_saveexec_b64 s[8:9], vcc
; %bb.1:
	v_cmp_eq_f32_e32 vcc, v7, v5
	v_cmp_lt_f32_e64 s[0:1], v8, v6
	s_and_b64 s[0:1], vcc, s[0:1]
	s_andn2_b64 s[6:7], s[6:7], exec
	s_and_b64 s[0:1], s[0:1], exec
	s_or_b64 s[6:7], s[6:7], s[0:1]
; %bb.2:
	s_or_b64 exec, exec, s[8:9]
	v_mov_b32_e32 v15, v8
	v_mov_b32_e32 v13, v7
	s_waitcnt vmcnt(0)
	v_mov_b32_e32 v16, v1
	s_and_saveexec_b64 s[0:1], s[6:7]
; %bb.3:
	v_mov_b32_e32 v15, v6
	v_mov_b32_e32 v13, v5
	;; [unrolled: 1-line block ×6, first 2 shown]
; %bb.4:
	s_or_b64 exec, exec, s[0:1]
	v_cmp_lt_f32_e64 s[6:7], v11, v9
	v_cmp_nlt_f32_e32 vcc, v11, v9
	s_and_saveexec_b64 s[8:9], vcc
; %bb.5:
	v_cmp_eq_f32_e32 vcc, v11, v9
	v_cmp_lt_f32_e64 s[0:1], v12, v10
	s_and_b64 s[0:1], vcc, s[0:1]
	s_andn2_b64 s[6:7], s[6:7], exec
	s_and_b64 s[0:1], s[0:1], exec
	s_or_b64 s[6:7], s[6:7], s[0:1]
; %bb.6:
	s_or_b64 exec, exec, s[8:9]
	v_mov_b32_e32 v8, v12
	v_mov_b32_e32 v17, v11
	;; [unrolled: 1-line block ×3, first 2 shown]
	s_and_saveexec_b64 s[0:1], s[6:7]
; %bb.7:
	v_mov_b32_e32 v8, v10
	v_mov_b32_e32 v17, v9
	;; [unrolled: 1-line block ×6, first 2 shown]
; %bb.8:
	s_or_b64 exec, exec, s[0:1]
	v_cmp_nlt_f32_e32 vcc, v9, v13
	s_mov_b64 s[0:1], -1
	s_and_saveexec_b64 s[6:7], vcc
	s_xor_b64 s[6:7], exec, s[6:7]
; %bb.9:
	v_cmp_eq_f32_e32 vcc, v9, v13
	v_cmp_lt_f32_e64 s[0:1], v10, v15
	s_and_b64 s[0:1], vcc, s[0:1]
	s_orn2_b64 s[0:1], s[0:1], exec
; %bb.10:
	s_or_b64 exec, exec, s[6:7]
	v_mov_b32_e32 v1, v10
	v_mov_b32_e32 v7, v9
	v_mov_b32_e32 v12, v2
	s_and_saveexec_b64 s[6:7], s[0:1]
; %bb.11:
	v_mov_b32_e32 v1, v15
	v_mov_b32_e32 v7, v13
	v_mov_b32_e32 v15, v10
	v_mov_b32_e32 v13, v9
	v_mov_b32_e32 v12, v18
	v_mov_b32_e32 v18, v2
; %bb.12:
	s_or_b64 exec, exec, s[6:7]
	v_cmp_lt_f32_e64 s[6:7], v13, v5
	v_cmp_nlt_f32_e32 vcc, v13, v5
	s_and_saveexec_b64 s[8:9], vcc
; %bb.13:
	v_cmp_eq_f32_e32 vcc, v13, v5
	v_cmp_lt_f32_e64 s[0:1], v15, v6
	s_and_b64 s[0:1], vcc, s[0:1]
	s_andn2_b64 s[6:7], s[6:7], exec
	s_and_b64 s[0:1], s[0:1], exec
	s_or_b64 s[6:7], s[6:7], s[0:1]
; %bb.14:
	s_or_b64 exec, exec, s[8:9]
	v_mov_b32_e32 v14, v15
	v_mov_b32_e32 v11, v5
	v_mov_b32_e32 v9, v16
	s_and_saveexec_b64 s[0:1], s[6:7]
; %bb.15:
	v_mov_b32_e32 v14, v6
	v_mov_b32_e32 v6, v15
	v_mov_b32_e32 v11, v13
	v_mov_b32_e32 v13, v5
	v_mov_b32_e32 v9, v12
	v_mov_b32_e32 v12, v16
; %bb.16:
	s_or_b64 exec, exec, s[0:1]
	v_cmp_lt_f32_e64 s[6:7], v17, v7
	v_cmp_nlt_f32_e32 vcc, v17, v7
	s_and_saveexec_b64 s[8:9], vcc
; %bb.17:
	v_cmp_eq_f32_e32 vcc, v17, v7
	v_cmp_lt_f32_e64 s[0:1], v8, v1
	s_and_b64 s[0:1], vcc, s[0:1]
	s_andn2_b64 s[6:7], s[6:7], exec
	s_and_b64 s[0:1], s[0:1], exec
	s_or_b64 s[6:7], s[6:7], s[0:1]
; %bb.18:
	s_or_b64 exec, exec, s[8:9]
	v_mov_b32_e32 v16, v8
	v_mov_b32_e32 v15, v17
	v_mov_b32_e32 v3, v18
	s_and_saveexec_b64 s[0:1], s[6:7]
; %bb.19:
	v_mov_b32_e32 v16, v1
	v_mov_b32_e32 v15, v7
	v_mov_b32_e32 v1, v8
	v_mov_b32_e32 v7, v17
	v_mov_b32_e32 v3, v4
	v_mov_b32_e32 v4, v18
; %bb.20:
	s_or_b64 exec, exec, s[0:1]
	v_cmp_lt_f32_e64 s[6:7], v7, v13
	v_cmp_nlt_f32_e32 vcc, v7, v13
	s_and_saveexec_b64 s[8:9], vcc
; %bb.21:
	v_cmp_eq_f32_e32 vcc, v7, v13
	v_cmp_lt_f32_e64 s[0:1], v1, v14
	s_and_b64 s[0:1], vcc, s[0:1]
	s_andn2_b64 s[6:7], s[6:7], exec
	s_and_b64 s[0:1], s[0:1], exec
	s_or_b64 s[6:7], s[6:7], s[0:1]
; %bb.22:
	s_or_b64 exec, exec, s[8:9]
	v_mov_b32_e32 v5, s3
	v_mov_b32_e32 v2, s5
	;; [unrolled: 1-line block ×5, first 2 shown]
	s_and_saveexec_b64 s[0:1], s[6:7]
; %bb.23:
	v_mov_b32_e32 v18, v14
	v_mov_b32_e32 v17, v13
	;; [unrolled: 1-line block ×6, first 2 shown]
; %bb.24:
	s_or_b64 exec, exec, s[0:1]
	v_add_co_u32_e32 v7, vcc, s2, v19
	v_addc_co_u32_e32 v8, vcc, 0, v5, vcc
	v_mbcnt_lo_u32_b32 v5, -1, 0
	v_mbcnt_hi_u32_b32 v5, -1, v5
	v_lshlrev_b32_e32 v28, 2, v5
	v_and_b32_e32 v25, 0x7c, v28
	v_lshrrev_b32_e32 v0, 5, v0
	s_movk_i32 s0, 0x408
	v_lshlrev_b32_e32 v5, 3, v25
	v_mad_u32_u24 v26, v0, s0, v5
	v_mov_b32_e32 v12, v6
	; wave barrier
	ds_write2_b64 v26, v[11:12], v[13:14] offset1:1
	ds_write2_b64 v26, v[17:18], v[15:16] offset0:2 offset1:3
	v_and_b32_e32 v17, 0x78, v28
	v_or_b32_e32 v27, 4, v17
	v_add_co_u32_e32 v1, vcc, s4, v20
	v_and_b32_e32 v13, 4, v28
	v_sub_u32_e32 v6, v27, v17
	v_addc_co_u32_e32 v2, vcc, 0, v2, vcc
	v_lshlrev_b32_e32 v5, 3, v17
	v_min_i32_e32 v6, v13, v6
	v_mov_b32_e32 v19, 0
	v_mad_u32_u24 v5, v0, s0, v5
	v_cmp_lt_i32_e32 vcc, 0, v6
	; wave barrier
	s_and_saveexec_b64 s[0:1], vcc
	s_cbranch_execz .LBB36_32
; %bb.25:
	v_lshl_add_u32 v11, v13, 3, v5
	v_mov_b32_e32 v19, 0
	s_mov_b64 s[2:3], 0
                                        ; implicit-def: $sgpr4_sgpr5
	s_branch .LBB36_28
.LBB36_26:                              ;   in Loop: Header=BB36_28 Depth=1
	s_or_b64 exec, exec, s[10:11]
	s_andn2_b64 s[4:5], s[4:5], exec
	s_and_b64 s[8:9], s[8:9], exec
	s_or_b64 s[4:5], s[4:5], s[8:9]
.LBB36_27:                              ;   in Loop: Header=BB36_28 Depth=1
	s_or_b64 exec, exec, s[6:7]
	v_add_u32_e32 v14, 1, v12
	v_cndmask_b32_e64 v6, v6, v12, s[4:5]
	v_cndmask_b32_e64 v19, v14, v19, s[4:5]
	v_cmp_ge_i32_e32 vcc, v19, v6
	s_or_b64 s[2:3], vcc, s[2:3]
	s_andn2_b64 exec, exec, s[2:3]
	s_cbranch_execz .LBB36_31
.LBB36_28:                              ; =>This Inner Loop Header: Depth=1
	v_sub_u32_e32 v12, v6, v19
	v_lshrrev_b32_e32 v12, 1, v12
	v_add_u32_e32 v12, v12, v19
	v_lshl_add_u32 v14, v12, 3, v5
	v_not_b32_e32 v15, v12
	v_lshl_add_u32 v15, v15, 3, v11
	ds_read_b32 v16, v14
	ds_read_b32 v18, v15 offset:32
	s_or_b64 s[4:5], s[4:5], exec
	s_waitcnt lgkmcnt(0)
	v_cmp_nlt_f32_e32 vcc, v18, v16
	s_and_saveexec_b64 s[6:7], vcc
	s_cbranch_execz .LBB36_27
; %bb.29:                               ;   in Loop: Header=BB36_28 Depth=1
	v_cmp_eq_f32_e32 vcc, v18, v16
	s_mov_b64 s[8:9], 0
	s_and_saveexec_b64 s[10:11], vcc
	s_cbranch_execz .LBB36_26
; %bb.30:                               ;   in Loop: Header=BB36_28 Depth=1
	ds_read_b32 v15, v15 offset:36
	ds_read_b32 v14, v14 offset:4
	s_waitcnt lgkmcnt(0)
	v_cmp_lt_f32_e32 vcc, v15, v14
	s_and_b64 s[8:9], vcc, exec
	s_branch .LBB36_26
.LBB36_31:
	s_or_b64 exec, exec, s[2:3]
.LBB36_32:
	s_or_b64 exec, exec, s[0:1]
	v_lshl_add_u32 v16, v19, 3, v5
	v_add_u32_e32 v5, v17, v13
	v_mul_u32_u24_e32 v0, 0x408, v0
	v_sub_u32_e32 v5, v5, v19
	v_lshl_add_u32 v18, v5, 3, v0
	ds_read_b64 v[5:6], v18 offset:32
	ds_read_b64 v[11:12], v16
	v_add_u32_e32 v13, v27, v13
	v_add_u32_e32 v30, 8, v17
	v_sub_u32_e32 v29, v13, v19
	s_waitcnt lgkmcnt(1)
	v_mov_b32_e32 v13, v5
	v_mov_b32_e32 v14, v6
	v_cmp_gt_i32_e32 vcc, v30, v29
	s_mov_b64 s[2:3], 0
	s_and_saveexec_b64 s[4:5], vcc
	s_cbranch_execz .LBB36_38
; %bb.33:
	v_cmp_gt_i32_e32 vcc, 4, v19
	s_waitcnt lgkmcnt(0)
	v_cmp_nlt_f32_e64 s[0:1], v5, v11
	s_and_b64 s[6:7], vcc, s[0:1]
	s_mov_b64 s[2:3], -1
	s_and_saveexec_b64 s[0:1], s[6:7]
	s_cbranch_execz .LBB36_37
; %bb.34:
	v_cmp_eq_f32_e32 vcc, v5, v11
	s_mov_b64 s[2:3], 0
	s_and_saveexec_b64 s[6:7], vcc
; %bb.35:
	v_cmp_lt_f32_e32 vcc, v6, v12
	s_and_b64 s[2:3], vcc, exec
; %bb.36:
	s_or_b64 exec, exec, s[6:7]
	s_orn2_b64 s[2:3], s[2:3], exec
.LBB36_37:
	s_or_b64 exec, exec, s[0:1]
	s_and_b64 s[2:3], s[2:3], exec
.LBB36_38:
	s_or_b64 exec, exec, s[4:5]
	s_xor_b64 s[0:1], s[2:3], -1
                                        ; implicit-def: $vgpr15
	s_and_saveexec_b64 s[4:5], s[0:1]
	s_xor_b64 s[0:1], exec, s[4:5]
; %bb.39:
	ds_read_b64 v[15:16], v16 offset:8
                                        ; implicit-def: $vgpr18
; %bb.40:
	s_andn2_saveexec_b64 s[0:1], s[0:1]
	s_cbranch_execz .LBB36_42
; %bb.41:
	ds_read_b64 v[13:14], v18 offset:40
	s_waitcnt lgkmcnt(1)
	v_mov_b32_e32 v16, v12
	v_mov_b32_e32 v15, v11
.LBB36_42:
	s_or_b64 exec, exec, s[0:1]
	v_add_u32_e32 v31, v19, v17
	v_add_u32_e32 v17, 1, v29
	;; [unrolled: 1-line block ×3, first 2 shown]
	v_cndmask_b32_e64 v32, v29, v17, s[2:3]
	v_cndmask_b32_e64 v33, v18, v31, s[2:3]
	v_cmp_lt_i32_e32 vcc, v32, v30
	s_mov_b64 s[4:5], 0
	s_and_saveexec_b64 s[6:7], vcc
	s_cbranch_execz .LBB36_48
; %bb.43:
	v_cmp_lt_i32_e32 vcc, v33, v27
	s_waitcnt lgkmcnt(0)
	v_cmp_nlt_f32_e64 s[0:1], v13, v15
	s_and_b64 s[8:9], vcc, s[0:1]
	s_mov_b64 s[4:5], -1
	s_and_saveexec_b64 s[0:1], s[8:9]
	s_cbranch_execz .LBB36_47
; %bb.44:
	v_cmp_eq_f32_e32 vcc, v13, v15
	s_mov_b64 s[4:5], 0
	s_and_saveexec_b64 s[8:9], vcc
; %bb.45:
	v_cmp_lt_f32_e32 vcc, v14, v16
	s_and_b64 s[4:5], vcc, exec
; %bb.46:
	s_or_b64 exec, exec, s[8:9]
	s_orn2_b64 s[4:5], s[4:5], exec
.LBB36_47:
	s_or_b64 exec, exec, s[0:1]
	s_and_b64 s[4:5], s[4:5], exec
.LBB36_48:
	s_or_b64 exec, exec, s[6:7]
	s_xor_b64 s[0:1], s[4:5], -1
                                        ; implicit-def: $vgpr17
	s_and_saveexec_b64 s[6:7], s[0:1]
	s_xor_b64 s[0:1], exec, s[6:7]
; %bb.49:
	v_lshl_add_u32 v17, v33, 3, v0
	ds_read_b64 v[17:18], v17 offset:8
; %bb.50:
	s_or_saveexec_b64 s[0:1], s[0:1]
	s_waitcnt lgkmcnt(0)
	v_mov_b32_e32 v19, v13
	v_mov_b32_e32 v20, v14
	s_xor_b64 exec, exec, s[0:1]
; %bb.51:
	v_lshl_add_u32 v17, v32, 3, v0
	ds_read_b64 v[19:20], v17 offset:8
	v_mov_b32_e32 v18, v16
	v_mov_b32_e32 v17, v15
; %bb.52:
	s_or_b64 exec, exec, s[0:1]
	v_add_u32_e32 v21, 1, v32
	v_add_u32_e32 v22, 1, v33
	v_cndmask_b32_e64 v34, v32, v21, s[4:5]
	v_cndmask_b32_e64 v35, v22, v33, s[4:5]
	v_cmp_lt_i32_e32 vcc, v34, v30
	s_mov_b64 s[6:7], 0
	s_and_saveexec_b64 s[8:9], vcc
	s_cbranch_execz .LBB36_58
; %bb.53:
	v_cmp_lt_i32_e32 vcc, v35, v27
	s_waitcnt lgkmcnt(0)
	v_cmp_nlt_f32_e64 s[0:1], v19, v17
	s_and_b64 s[10:11], vcc, s[0:1]
	s_mov_b64 s[6:7], -1
	s_and_saveexec_b64 s[0:1], s[10:11]
	s_cbranch_execz .LBB36_57
; %bb.54:
	v_cmp_eq_f32_e32 vcc, v19, v17
	s_mov_b64 s[6:7], 0
	s_and_saveexec_b64 s[10:11], vcc
; %bb.55:
	v_cmp_lt_f32_e32 vcc, v20, v18
	s_and_b64 s[6:7], vcc, exec
; %bb.56:
	s_or_b64 exec, exec, s[10:11]
	s_orn2_b64 s[6:7], s[6:7], exec
.LBB36_57:
	s_or_b64 exec, exec, s[0:1]
	s_and_b64 s[6:7], s[6:7], exec
.LBB36_58:
	s_or_b64 exec, exec, s[8:9]
	s_xor_b64 s[0:1], s[6:7], -1
                                        ; implicit-def: $vgpr21
	s_and_saveexec_b64 s[8:9], s[0:1]
	s_xor_b64 s[0:1], exec, s[8:9]
; %bb.59:
	v_lshl_add_u32 v21, v35, 3, v0
	ds_read_b64 v[21:22], v21 offset:8
; %bb.60:
	s_or_saveexec_b64 s[0:1], s[0:1]
	s_waitcnt lgkmcnt(0)
	v_mov_b32_e32 v23, v19
	v_mov_b32_e32 v24, v20
	s_xor_b64 exec, exec, s[0:1]
; %bb.61:
	v_lshl_add_u32 v21, v34, 3, v0
	ds_read_b64 v[23:24], v21 offset:8
	v_mov_b32_e32 v22, v18
	v_mov_b32_e32 v21, v17
; %bb.62:
	s_or_b64 exec, exec, s[0:1]
	v_add_u32_e32 v36, 1, v34
	v_add_u32_e32 v37, 1, v35
	v_cndmask_b32_e64 v36, v34, v36, s[6:7]
	v_cndmask_b32_e64 v37, v37, v35, s[6:7]
	v_cmp_lt_i32_e32 vcc, v36, v30
	s_mov_b64 s[0:1], 0
	s_and_saveexec_b64 s[8:9], vcc
	s_cbranch_execz .LBB36_68
; %bb.63:
	v_cmp_lt_i32_e32 vcc, v37, v27
	s_waitcnt lgkmcnt(0)
	v_cmp_nlt_f32_e64 s[0:1], v23, v21
	s_and_b64 s[12:13], vcc, s[0:1]
	s_mov_b64 s[10:11], -1
	s_and_saveexec_b64 s[0:1], s[12:13]
	s_cbranch_execz .LBB36_67
; %bb.64:
	v_cmp_eq_f32_e32 vcc, v23, v21
	s_mov_b64 s[10:11], 0
	s_and_saveexec_b64 s[12:13], vcc
; %bb.65:
	v_cmp_lt_f32_e32 vcc, v24, v22
	s_and_b64 s[10:11], vcc, exec
; %bb.66:
	s_or_b64 exec, exec, s[12:13]
	s_orn2_b64 s[10:11], s[10:11], exec
.LBB36_67:
	s_or_b64 exec, exec, s[0:1]
	s_and_b64 s[0:1], s[10:11], exec
.LBB36_68:
	s_or_b64 exec, exec, s[8:9]
	v_cndmask_b32_e64 v17, v17, v19, s[6:7]
	v_cndmask_b32_e64 v18, v18, v20, s[6:7]
	;; [unrolled: 1-line block ×8, first 2 shown]
	v_lshl_add_u32 v27, v25, 2, v0
	; wave barrier
	ds_write2_b64 v27, v[9:10], v[3:4] offset1:1
	v_lshl_add_u32 v3, v5, 2, v0
	v_lshl_add_u32 v4, v20, 2, v0
	v_lshl_add_u32 v5, v19, 2, v0
	v_lshl_add_u32 v6, v6, 2, v0
	; wave barrier
	ds_read_b32 v3, v3
	ds_read_b32 v4, v4
	;; [unrolled: 1-line block ×4, first 2 shown]
	v_cndmask_b32_e64 v13, v15, v13, s[4:5]
	v_cndmask_b32_e64 v14, v16, v14, s[4:5]
	s_waitcnt lgkmcnt(5)
	v_cndmask_b32_e64 v15, v21, v23, s[0:1]
	v_cndmask_b32_e64 v16, v22, v24, s[0:1]
	; wave barrier
	ds_write2_b64 v26, v[11:12], v[13:14] offset1:1
	ds_write2_b64 v26, v[17:18], v[15:16] offset0:2 offset1:3
	v_and_b32_e32 v17, 0x70, v28
	v_or_b32_e32 v29, 8, v17
	v_and_b32_e32 v13, 12, v28
	v_sub_u32_e32 v10, v29, v17
	v_sub_u32_e64 v18, v13, 8 clamp
	v_min_i32_e32 v10, v13, v10
	v_lshl_add_u32 v9, v17, 3, v0
	v_cmp_lt_i32_e32 vcc, v18, v10
	; wave barrier
	s_and_saveexec_b64 s[0:1], vcc
	s_cbranch_execz .LBB36_76
; %bb.69:
	v_lshl_add_u32 v11, v13, 3, v9
	s_mov_b64 s[2:3], 0
                                        ; implicit-def: $sgpr4_sgpr5
	s_branch .LBB36_72
.LBB36_70:                              ;   in Loop: Header=BB36_72 Depth=1
	s_or_b64 exec, exec, s[10:11]
	s_andn2_b64 s[4:5], s[4:5], exec
	s_and_b64 s[8:9], s[8:9], exec
	s_or_b64 s[4:5], s[4:5], s[8:9]
.LBB36_71:                              ;   in Loop: Header=BB36_72 Depth=1
	s_or_b64 exec, exec, s[6:7]
	v_add_u32_e32 v14, 1, v12
	v_cndmask_b32_e64 v10, v10, v12, s[4:5]
	v_cndmask_b32_e64 v18, v14, v18, s[4:5]
	v_cmp_ge_i32_e32 vcc, v18, v10
	s_or_b64 s[2:3], vcc, s[2:3]
	s_andn2_b64 exec, exec, s[2:3]
	s_cbranch_execz .LBB36_75
.LBB36_72:                              ; =>This Inner Loop Header: Depth=1
	v_sub_u32_e32 v12, v10, v18
	v_lshrrev_b32_e32 v12, 1, v12
	v_add_u32_e32 v12, v12, v18
	v_lshl_add_u32 v14, v12, 3, v9
	v_not_b32_e32 v15, v12
	v_lshl_add_u32 v15, v15, 3, v11
	ds_read_b32 v16, v14
	ds_read_b32 v19, v15 offset:64
	s_or_b64 s[4:5], s[4:5], exec
	s_waitcnt lgkmcnt(0)
	v_cmp_nlt_f32_e32 vcc, v19, v16
	s_and_saveexec_b64 s[6:7], vcc
	s_cbranch_execz .LBB36_71
; %bb.73:                               ;   in Loop: Header=BB36_72 Depth=1
	v_cmp_eq_f32_e32 vcc, v19, v16
	s_mov_b64 s[8:9], 0
	s_and_saveexec_b64 s[10:11], vcc
	s_cbranch_execz .LBB36_70
; %bb.74:                               ;   in Loop: Header=BB36_72 Depth=1
	ds_read_b32 v15, v15 offset:68
	ds_read_b32 v14, v14 offset:4
	s_waitcnt lgkmcnt(0)
	v_cmp_lt_f32_e32 vcc, v15, v14
	s_and_b64 s[8:9], vcc, exec
	s_branch .LBB36_70
.LBB36_75:
	s_or_b64 exec, exec, s[2:3]
.LBB36_76:
	s_or_b64 exec, exec, s[0:1]
	v_lshl_add_u32 v16, v18, 3, v9
	v_add_u32_e32 v9, v17, v13
	v_sub_u32_e32 v9, v9, v18
	v_lshl_add_u32 v19, v9, 3, v0
	ds_read_b64 v[9:10], v19 offset:64
	ds_read_b64 v[11:12], v16
	v_add_u32_e32 v13, v29, v13
	v_add_u32_e32 v31, 16, v17
	v_sub_u32_e32 v30, v13, v18
	s_waitcnt lgkmcnt(1)
	v_mov_b32_e32 v13, v9
	v_mov_b32_e32 v14, v10
	v_cmp_gt_i32_e32 vcc, v31, v30
	s_mov_b64 s[2:3], 0
	s_and_saveexec_b64 s[4:5], vcc
	s_cbranch_execz .LBB36_82
; %bb.77:
	v_cmp_gt_i32_e32 vcc, 8, v18
	s_waitcnt lgkmcnt(0)
	v_cmp_nlt_f32_e64 s[0:1], v9, v11
	s_and_b64 s[6:7], vcc, s[0:1]
	s_mov_b64 s[2:3], -1
	s_and_saveexec_b64 s[0:1], s[6:7]
	s_cbranch_execz .LBB36_81
; %bb.78:
	v_cmp_eq_f32_e32 vcc, v9, v11
	s_mov_b64 s[2:3], 0
	s_and_saveexec_b64 s[6:7], vcc
; %bb.79:
	v_cmp_lt_f32_e32 vcc, v10, v12
	s_and_b64 s[2:3], vcc, exec
; %bb.80:
	s_or_b64 exec, exec, s[6:7]
	s_orn2_b64 s[2:3], s[2:3], exec
.LBB36_81:
	s_or_b64 exec, exec, s[0:1]
	s_and_b64 s[2:3], s[2:3], exec
.LBB36_82:
	s_or_b64 exec, exec, s[4:5]
	s_xor_b64 s[0:1], s[2:3], -1
                                        ; implicit-def: $vgpr15
	s_and_saveexec_b64 s[4:5], s[0:1]
	s_xor_b64 s[0:1], exec, s[4:5]
; %bb.83:
	ds_read_b64 v[15:16], v16 offset:8
                                        ; implicit-def: $vgpr19
; %bb.84:
	s_andn2_saveexec_b64 s[0:1], s[0:1]
	s_cbranch_execz .LBB36_86
; %bb.85:
	ds_read_b64 v[13:14], v19 offset:72
	s_waitcnt lgkmcnt(1)
	v_mov_b32_e32 v16, v12
	v_mov_b32_e32 v15, v11
.LBB36_86:
	s_or_b64 exec, exec, s[0:1]
	v_add_u32_e32 v32, v18, v17
	v_add_u32_e32 v17, 1, v30
	;; [unrolled: 1-line block ×3, first 2 shown]
	v_cndmask_b32_e64 v33, v30, v17, s[2:3]
	v_cndmask_b32_e64 v34, v18, v32, s[2:3]
	v_cmp_lt_i32_e32 vcc, v33, v31
	s_mov_b64 s[4:5], 0
	s_and_saveexec_b64 s[6:7], vcc
	s_cbranch_execz .LBB36_92
; %bb.87:
	v_cmp_lt_i32_e32 vcc, v34, v29
	s_waitcnt lgkmcnt(0)
	v_cmp_nlt_f32_e64 s[0:1], v13, v15
	s_and_b64 s[8:9], vcc, s[0:1]
	s_mov_b64 s[4:5], -1
	s_and_saveexec_b64 s[0:1], s[8:9]
	s_cbranch_execz .LBB36_91
; %bb.88:
	v_cmp_eq_f32_e32 vcc, v13, v15
	s_mov_b64 s[4:5], 0
	s_and_saveexec_b64 s[8:9], vcc
; %bb.89:
	v_cmp_lt_f32_e32 vcc, v14, v16
	s_and_b64 s[4:5], vcc, exec
; %bb.90:
	s_or_b64 exec, exec, s[8:9]
	s_orn2_b64 s[4:5], s[4:5], exec
.LBB36_91:
	s_or_b64 exec, exec, s[0:1]
	s_and_b64 s[4:5], s[4:5], exec
.LBB36_92:
	s_or_b64 exec, exec, s[6:7]
	s_xor_b64 s[0:1], s[4:5], -1
                                        ; implicit-def: $vgpr17
	s_and_saveexec_b64 s[6:7], s[0:1]
	s_xor_b64 s[0:1], exec, s[6:7]
; %bb.93:
	v_lshl_add_u32 v17, v34, 3, v0
	ds_read_b64 v[17:18], v17 offset:8
; %bb.94:
	s_or_saveexec_b64 s[0:1], s[0:1]
	s_waitcnt lgkmcnt(0)
	v_mov_b32_e32 v19, v13
	v_mov_b32_e32 v20, v14
	s_xor_b64 exec, exec, s[0:1]
; %bb.95:
	v_lshl_add_u32 v17, v33, 3, v0
	ds_read_b64 v[19:20], v17 offset:8
	v_mov_b32_e32 v18, v16
	v_mov_b32_e32 v17, v15
; %bb.96:
	s_or_b64 exec, exec, s[0:1]
	v_add_u32_e32 v21, 1, v33
	v_add_u32_e32 v22, 1, v34
	v_cndmask_b32_e64 v35, v33, v21, s[4:5]
	v_cndmask_b32_e64 v36, v22, v34, s[4:5]
	v_cmp_lt_i32_e32 vcc, v35, v31
	s_mov_b64 s[6:7], 0
	s_and_saveexec_b64 s[8:9], vcc
	s_cbranch_execz .LBB36_102
; %bb.97:
	v_cmp_lt_i32_e32 vcc, v36, v29
	s_waitcnt lgkmcnt(0)
	v_cmp_nlt_f32_e64 s[0:1], v19, v17
	s_and_b64 s[10:11], vcc, s[0:1]
	s_mov_b64 s[6:7], -1
	s_and_saveexec_b64 s[0:1], s[10:11]
	s_cbranch_execz .LBB36_101
; %bb.98:
	v_cmp_eq_f32_e32 vcc, v19, v17
	s_mov_b64 s[6:7], 0
	s_and_saveexec_b64 s[10:11], vcc
; %bb.99:
	v_cmp_lt_f32_e32 vcc, v20, v18
	s_and_b64 s[6:7], vcc, exec
; %bb.100:
	s_or_b64 exec, exec, s[10:11]
	s_orn2_b64 s[6:7], s[6:7], exec
.LBB36_101:
	s_or_b64 exec, exec, s[0:1]
	s_and_b64 s[6:7], s[6:7], exec
.LBB36_102:
	s_or_b64 exec, exec, s[8:9]
	s_xor_b64 s[0:1], s[6:7], -1
                                        ; implicit-def: $vgpr21
	s_and_saveexec_b64 s[8:9], s[0:1]
	s_xor_b64 s[0:1], exec, s[8:9]
; %bb.103:
	v_lshl_add_u32 v21, v36, 3, v0
	ds_read_b64 v[21:22], v21 offset:8
; %bb.104:
	s_or_saveexec_b64 s[0:1], s[0:1]
	s_waitcnt lgkmcnt(0)
	v_mov_b32_e32 v23, v19
	v_mov_b32_e32 v24, v20
	s_xor_b64 exec, exec, s[0:1]
; %bb.105:
	v_lshl_add_u32 v21, v35, 3, v0
	ds_read_b64 v[23:24], v21 offset:8
	v_mov_b32_e32 v22, v18
	v_mov_b32_e32 v21, v17
; %bb.106:
	s_or_b64 exec, exec, s[0:1]
	v_add_u32_e32 v37, 1, v35
	v_add_u32_e32 v38, 1, v36
	v_cndmask_b32_e64 v37, v35, v37, s[6:7]
	v_cndmask_b32_e64 v38, v38, v36, s[6:7]
	v_cmp_lt_i32_e32 vcc, v37, v31
	s_mov_b64 s[0:1], 0
	s_and_saveexec_b64 s[8:9], vcc
	s_cbranch_execz .LBB36_112
; %bb.107:
	v_cmp_lt_i32_e32 vcc, v38, v29
	s_waitcnt lgkmcnt(0)
	v_cmp_nlt_f32_e64 s[0:1], v23, v21
	s_and_b64 s[12:13], vcc, s[0:1]
	s_mov_b64 s[10:11], -1
	s_and_saveexec_b64 s[0:1], s[12:13]
	s_cbranch_execz .LBB36_111
; %bb.108:
	v_cmp_eq_f32_e32 vcc, v23, v21
	s_mov_b64 s[10:11], 0
	s_and_saveexec_b64 s[12:13], vcc
; %bb.109:
	v_cmp_lt_f32_e32 vcc, v24, v22
	s_and_b64 s[10:11], vcc, exec
; %bb.110:
	s_or_b64 exec, exec, s[12:13]
	s_orn2_b64 s[10:11], s[10:11], exec
.LBB36_111:
	s_or_b64 exec, exec, s[0:1]
	s_and_b64 s[0:1], s[10:11], exec
.LBB36_112:
	s_or_b64 exec, exec, s[8:9]
	v_cndmask_b32_e64 v17, v17, v19, s[6:7]
	v_cndmask_b32_e64 v18, v18, v20, s[6:7]
	;; [unrolled: 1-line block ×8, first 2 shown]
	; wave barrier
	ds_write2_b64 v27, v[3:4], v[5:6] offset1:1
	v_lshl_add_u32 v3, v16, 2, v0
	v_lshl_add_u32 v4, v15, 2, v0
	;; [unrolled: 1-line block ×4, first 2 shown]
	; wave barrier
	ds_read_b32 v3, v3
	ds_read_b32 v4, v4
	;; [unrolled: 1-line block ×4, first 2 shown]
	v_cndmask_b32_e64 v9, v11, v9, s[2:3]
	v_cndmask_b32_e64 v10, v12, v10, s[2:3]
	s_waitcnt lgkmcnt(5)
	v_cndmask_b32_e64 v11, v21, v23, s[0:1]
	v_cndmask_b32_e64 v12, v22, v24, s[0:1]
	; wave barrier
	ds_write2_b64 v26, v[9:10], v[13:14] offset1:1
	ds_write2_b64 v26, v[17:18], v[11:12] offset0:2 offset1:3
	v_and_b32_e32 v17, 0x60, v28
	v_or_b32_e32 v29, 16, v17
	v_and_b32_e32 v13, 28, v28
	v_sub_u32_e32 v10, v29, v17
	v_sub_u32_e64 v18, v13, 16 clamp
	v_min_i32_e32 v10, v13, v10
	v_lshl_add_u32 v9, v17, 3, v0
	v_cmp_lt_i32_e32 vcc, v18, v10
	; wave barrier
	s_and_saveexec_b64 s[0:1], vcc
	s_cbranch_execz .LBB36_120
; %bb.113:
	v_lshl_add_u32 v11, v13, 3, v9
	s_mov_b64 s[2:3], 0
                                        ; implicit-def: $sgpr4_sgpr5
	s_branch .LBB36_116
.LBB36_114:                             ;   in Loop: Header=BB36_116 Depth=1
	s_or_b64 exec, exec, s[10:11]
	s_andn2_b64 s[4:5], s[4:5], exec
	s_and_b64 s[8:9], s[8:9], exec
	s_or_b64 s[4:5], s[4:5], s[8:9]
.LBB36_115:                             ;   in Loop: Header=BB36_116 Depth=1
	s_or_b64 exec, exec, s[6:7]
	v_add_u32_e32 v14, 1, v12
	v_cndmask_b32_e64 v10, v10, v12, s[4:5]
	v_cndmask_b32_e64 v18, v14, v18, s[4:5]
	v_cmp_ge_i32_e32 vcc, v18, v10
	s_or_b64 s[2:3], vcc, s[2:3]
	s_andn2_b64 exec, exec, s[2:3]
	s_cbranch_execz .LBB36_119
.LBB36_116:                             ; =>This Inner Loop Header: Depth=1
	v_sub_u32_e32 v12, v10, v18
	v_lshrrev_b32_e32 v12, 1, v12
	v_add_u32_e32 v12, v12, v18
	v_lshl_add_u32 v14, v12, 3, v9
	v_not_b32_e32 v15, v12
	v_lshl_add_u32 v15, v15, 3, v11
	ds_read_b32 v16, v14
	ds_read_b32 v19, v15 offset:128
	s_or_b64 s[4:5], s[4:5], exec
	s_waitcnt lgkmcnt(0)
	v_cmp_nlt_f32_e32 vcc, v19, v16
	s_and_saveexec_b64 s[6:7], vcc
	s_cbranch_execz .LBB36_115
; %bb.117:                              ;   in Loop: Header=BB36_116 Depth=1
	v_cmp_eq_f32_e32 vcc, v19, v16
	s_mov_b64 s[8:9], 0
	s_and_saveexec_b64 s[10:11], vcc
	s_cbranch_execz .LBB36_114
; %bb.118:                              ;   in Loop: Header=BB36_116 Depth=1
	ds_read_b32 v15, v15 offset:132
	ds_read_b32 v14, v14 offset:4
	s_waitcnt lgkmcnt(0)
	v_cmp_lt_f32_e32 vcc, v15, v14
	s_and_b64 s[8:9], vcc, exec
	s_branch .LBB36_114
.LBB36_119:
	s_or_b64 exec, exec, s[2:3]
.LBB36_120:
	s_or_b64 exec, exec, s[0:1]
	v_lshl_add_u32 v16, v18, 3, v9
	v_add_u32_e32 v9, v17, v13
	v_sub_u32_e32 v9, v9, v18
	v_lshl_add_u32 v19, v9, 3, v0
	ds_read_b64 v[9:10], v19 offset:128
	ds_read_b64 v[11:12], v16
	v_add_u32_e32 v13, v29, v13
	v_add_u32_e32 v31, 32, v17
	v_sub_u32_e32 v30, v13, v18
	s_waitcnt lgkmcnt(1)
	v_mov_b32_e32 v13, v9
	v_mov_b32_e32 v14, v10
	v_cmp_gt_i32_e32 vcc, v31, v30
	s_mov_b64 s[2:3], 0
	s_and_saveexec_b64 s[4:5], vcc
	s_cbranch_execz .LBB36_126
; %bb.121:
	v_cmp_gt_i32_e32 vcc, 16, v18
	s_waitcnt lgkmcnt(0)
	v_cmp_nlt_f32_e64 s[0:1], v9, v11
	s_and_b64 s[6:7], vcc, s[0:1]
	s_mov_b64 s[2:3], -1
	s_and_saveexec_b64 s[0:1], s[6:7]
	s_cbranch_execz .LBB36_125
; %bb.122:
	v_cmp_eq_f32_e32 vcc, v9, v11
	s_mov_b64 s[2:3], 0
	s_and_saveexec_b64 s[6:7], vcc
; %bb.123:
	v_cmp_lt_f32_e32 vcc, v10, v12
	s_and_b64 s[2:3], vcc, exec
; %bb.124:
	s_or_b64 exec, exec, s[6:7]
	s_orn2_b64 s[2:3], s[2:3], exec
.LBB36_125:
	s_or_b64 exec, exec, s[0:1]
	s_and_b64 s[2:3], s[2:3], exec
.LBB36_126:
	s_or_b64 exec, exec, s[4:5]
	s_xor_b64 s[0:1], s[2:3], -1
                                        ; implicit-def: $vgpr15
	s_and_saveexec_b64 s[4:5], s[0:1]
	s_xor_b64 s[0:1], exec, s[4:5]
; %bb.127:
	ds_read_b64 v[15:16], v16 offset:8
                                        ; implicit-def: $vgpr19
; %bb.128:
	s_andn2_saveexec_b64 s[0:1], s[0:1]
	s_cbranch_execz .LBB36_130
; %bb.129:
	ds_read_b64 v[13:14], v19 offset:136
	s_waitcnt lgkmcnt(1)
	v_mov_b32_e32 v16, v12
	v_mov_b32_e32 v15, v11
.LBB36_130:
	s_or_b64 exec, exec, s[0:1]
	v_add_u32_e32 v32, v18, v17
	v_add_u32_e32 v17, 1, v30
	;; [unrolled: 1-line block ×3, first 2 shown]
	v_cndmask_b32_e64 v33, v30, v17, s[2:3]
	v_cndmask_b32_e64 v34, v18, v32, s[2:3]
	v_cmp_lt_i32_e32 vcc, v33, v31
	s_mov_b64 s[4:5], 0
	s_and_saveexec_b64 s[6:7], vcc
	s_cbranch_execz .LBB36_136
; %bb.131:
	v_cmp_lt_i32_e32 vcc, v34, v29
	s_waitcnt lgkmcnt(0)
	v_cmp_nlt_f32_e64 s[0:1], v13, v15
	s_and_b64 s[8:9], vcc, s[0:1]
	s_mov_b64 s[4:5], -1
	s_and_saveexec_b64 s[0:1], s[8:9]
	s_cbranch_execz .LBB36_135
; %bb.132:
	v_cmp_eq_f32_e32 vcc, v13, v15
	s_mov_b64 s[4:5], 0
	s_and_saveexec_b64 s[8:9], vcc
; %bb.133:
	v_cmp_lt_f32_e32 vcc, v14, v16
	s_and_b64 s[4:5], vcc, exec
; %bb.134:
	s_or_b64 exec, exec, s[8:9]
	s_orn2_b64 s[4:5], s[4:5], exec
.LBB36_135:
	s_or_b64 exec, exec, s[0:1]
	s_and_b64 s[4:5], s[4:5], exec
.LBB36_136:
	s_or_b64 exec, exec, s[6:7]
	s_xor_b64 s[0:1], s[4:5], -1
                                        ; implicit-def: $vgpr17
	s_and_saveexec_b64 s[6:7], s[0:1]
	s_xor_b64 s[0:1], exec, s[6:7]
; %bb.137:
	v_lshl_add_u32 v17, v34, 3, v0
	ds_read_b64 v[17:18], v17 offset:8
; %bb.138:
	s_or_saveexec_b64 s[0:1], s[0:1]
	s_waitcnt lgkmcnt(0)
	v_mov_b32_e32 v19, v13
	v_mov_b32_e32 v20, v14
	s_xor_b64 exec, exec, s[0:1]
; %bb.139:
	v_lshl_add_u32 v17, v33, 3, v0
	ds_read_b64 v[19:20], v17 offset:8
	v_mov_b32_e32 v18, v16
	v_mov_b32_e32 v17, v15
; %bb.140:
	s_or_b64 exec, exec, s[0:1]
	v_add_u32_e32 v21, 1, v33
	v_add_u32_e32 v22, 1, v34
	v_cndmask_b32_e64 v35, v33, v21, s[4:5]
	v_cndmask_b32_e64 v36, v22, v34, s[4:5]
	v_cmp_lt_i32_e32 vcc, v35, v31
	s_mov_b64 s[6:7], 0
	s_and_saveexec_b64 s[8:9], vcc
	s_cbranch_execz .LBB36_146
; %bb.141:
	v_cmp_lt_i32_e32 vcc, v36, v29
	s_waitcnt lgkmcnt(0)
	v_cmp_nlt_f32_e64 s[0:1], v19, v17
	s_and_b64 s[10:11], vcc, s[0:1]
	s_mov_b64 s[6:7], -1
	s_and_saveexec_b64 s[0:1], s[10:11]
	s_cbranch_execz .LBB36_145
; %bb.142:
	v_cmp_eq_f32_e32 vcc, v19, v17
	s_mov_b64 s[6:7], 0
	s_and_saveexec_b64 s[10:11], vcc
; %bb.143:
	v_cmp_lt_f32_e32 vcc, v20, v18
	s_and_b64 s[6:7], vcc, exec
; %bb.144:
	s_or_b64 exec, exec, s[10:11]
	s_orn2_b64 s[6:7], s[6:7], exec
.LBB36_145:
	s_or_b64 exec, exec, s[0:1]
	s_and_b64 s[6:7], s[6:7], exec
.LBB36_146:
	s_or_b64 exec, exec, s[8:9]
	s_xor_b64 s[0:1], s[6:7], -1
                                        ; implicit-def: $vgpr21
	s_and_saveexec_b64 s[8:9], s[0:1]
	s_xor_b64 s[0:1], exec, s[8:9]
; %bb.147:
	v_lshl_add_u32 v21, v36, 3, v0
	ds_read_b64 v[21:22], v21 offset:8
; %bb.148:
	s_or_saveexec_b64 s[0:1], s[0:1]
	s_waitcnt lgkmcnt(0)
	v_mov_b32_e32 v23, v19
	v_mov_b32_e32 v24, v20
	s_xor_b64 exec, exec, s[0:1]
; %bb.149:
	v_lshl_add_u32 v21, v35, 3, v0
	ds_read_b64 v[23:24], v21 offset:8
	v_mov_b32_e32 v22, v18
	v_mov_b32_e32 v21, v17
; %bb.150:
	s_or_b64 exec, exec, s[0:1]
	v_add_u32_e32 v37, 1, v35
	v_add_u32_e32 v38, 1, v36
	v_cndmask_b32_e64 v37, v35, v37, s[6:7]
	v_cndmask_b32_e64 v38, v38, v36, s[6:7]
	v_cmp_lt_i32_e32 vcc, v37, v31
	s_mov_b64 s[0:1], 0
	s_and_saveexec_b64 s[8:9], vcc
	s_cbranch_execz .LBB36_156
; %bb.151:
	v_cmp_lt_i32_e32 vcc, v38, v29
	s_waitcnt lgkmcnt(0)
	v_cmp_nlt_f32_e64 s[0:1], v23, v21
	s_and_b64 s[12:13], vcc, s[0:1]
	s_mov_b64 s[10:11], -1
	s_and_saveexec_b64 s[0:1], s[12:13]
	s_cbranch_execz .LBB36_155
; %bb.152:
	v_cmp_eq_f32_e32 vcc, v23, v21
	s_mov_b64 s[10:11], 0
	s_and_saveexec_b64 s[12:13], vcc
; %bb.153:
	v_cmp_lt_f32_e32 vcc, v24, v22
	s_and_b64 s[10:11], vcc, exec
; %bb.154:
	s_or_b64 exec, exec, s[12:13]
	s_orn2_b64 s[10:11], s[10:11], exec
.LBB36_155:
	s_or_b64 exec, exec, s[0:1]
	s_and_b64 s[0:1], s[10:11], exec
.LBB36_156:
	s_or_b64 exec, exec, s[8:9]
	v_cndmask_b32_e64 v17, v17, v19, s[6:7]
	v_cndmask_b32_e64 v18, v18, v20, s[6:7]
	;; [unrolled: 1-line block ×8, first 2 shown]
	; wave barrier
	ds_write2_b64 v27, v[3:4], v[5:6] offset1:1
	v_lshl_add_u32 v3, v16, 2, v0
	v_lshl_add_u32 v4, v15, 2, v0
	;; [unrolled: 1-line block ×4, first 2 shown]
	; wave barrier
	ds_read_b32 v3, v3
	ds_read_b32 v4, v4
	;; [unrolled: 1-line block ×4, first 2 shown]
	v_cndmask_b32_e64 v9, v11, v9, s[2:3]
	v_cndmask_b32_e64 v10, v12, v10, s[2:3]
	s_waitcnt lgkmcnt(5)
	v_cndmask_b32_e64 v11, v21, v23, s[0:1]
	v_cndmask_b32_e64 v12, v22, v24, s[0:1]
	; wave barrier
	ds_write2_b64 v26, v[9:10], v[13:14] offset1:1
	ds_write2_b64 v26, v[17:18], v[11:12] offset0:2 offset1:3
	v_and_b32_e32 v17, 64, v28
	v_and_b32_e32 v13, 60, v28
	v_or_b32_e32 v28, 32, v17
	v_sub_u32_e32 v10, v28, v17
	v_sub_u32_e64 v18, v13, 32 clamp
	v_min_i32_e32 v10, v13, v10
	v_lshl_add_u32 v9, v17, 3, v0
	v_cmp_lt_i32_e32 vcc, v18, v10
	; wave barrier
	s_and_saveexec_b64 s[0:1], vcc
	s_cbranch_execz .LBB36_164
; %bb.157:
	v_lshl_add_u32 v11, v13, 3, v9
	s_mov_b64 s[2:3], 0
                                        ; implicit-def: $sgpr4_sgpr5
	s_branch .LBB36_160
.LBB36_158:                             ;   in Loop: Header=BB36_160 Depth=1
	s_or_b64 exec, exec, s[10:11]
	s_andn2_b64 s[4:5], s[4:5], exec
	s_and_b64 s[8:9], s[8:9], exec
	s_or_b64 s[4:5], s[4:5], s[8:9]
.LBB36_159:                             ;   in Loop: Header=BB36_160 Depth=1
	s_or_b64 exec, exec, s[6:7]
	v_add_u32_e32 v14, 1, v12
	v_cndmask_b32_e64 v10, v10, v12, s[4:5]
	v_cndmask_b32_e64 v18, v14, v18, s[4:5]
	v_cmp_ge_i32_e32 vcc, v18, v10
	s_or_b64 s[2:3], vcc, s[2:3]
	s_andn2_b64 exec, exec, s[2:3]
	s_cbranch_execz .LBB36_163
.LBB36_160:                             ; =>This Inner Loop Header: Depth=1
	v_sub_u32_e32 v12, v10, v18
	v_lshrrev_b32_e32 v12, 1, v12
	v_add_u32_e32 v12, v12, v18
	v_lshl_add_u32 v14, v12, 3, v9
	v_not_b32_e32 v15, v12
	v_lshl_add_u32 v15, v15, 3, v11
	ds_read_b32 v16, v14
	ds_read_b32 v19, v15 offset:256
	s_or_b64 s[4:5], s[4:5], exec
	s_waitcnt lgkmcnt(0)
	v_cmp_nlt_f32_e32 vcc, v19, v16
	s_and_saveexec_b64 s[6:7], vcc
	s_cbranch_execz .LBB36_159
; %bb.161:                              ;   in Loop: Header=BB36_160 Depth=1
	v_cmp_eq_f32_e32 vcc, v19, v16
	s_mov_b64 s[8:9], 0
	s_and_saveexec_b64 s[10:11], vcc
	s_cbranch_execz .LBB36_158
; %bb.162:                              ;   in Loop: Header=BB36_160 Depth=1
	ds_read_b32 v15, v15 offset:260
	ds_read_b32 v14, v14 offset:4
	s_waitcnt lgkmcnt(0)
	v_cmp_lt_f32_e32 vcc, v15, v14
	s_and_b64 s[8:9], vcc, exec
	s_branch .LBB36_158
.LBB36_163:
	s_or_b64 exec, exec, s[2:3]
.LBB36_164:
	s_or_b64 exec, exec, s[0:1]
	v_lshl_add_u32 v16, v18, 3, v9
	v_add_u32_e32 v9, v17, v13
	v_sub_u32_e32 v9, v9, v18
	v_lshl_add_u32 v19, v9, 3, v0
	ds_read_b64 v[9:10], v19 offset:256
	ds_read_b64 v[11:12], v16
	v_add_u32_e32 v13, v28, v13
	v_add_u32_e32 v30, 64, v17
	v_sub_u32_e32 v29, v13, v18
	s_waitcnt lgkmcnt(1)
	v_mov_b32_e32 v13, v9
	v_mov_b32_e32 v14, v10
	v_cmp_gt_i32_e32 vcc, v30, v29
	s_mov_b64 s[2:3], 0
	s_and_saveexec_b64 s[4:5], vcc
	s_cbranch_execz .LBB36_170
; %bb.165:
	v_cmp_gt_i32_e32 vcc, 32, v18
	s_waitcnt lgkmcnt(0)
	v_cmp_nlt_f32_e64 s[0:1], v9, v11
	s_and_b64 s[6:7], vcc, s[0:1]
	s_mov_b64 s[2:3], -1
	s_and_saveexec_b64 s[0:1], s[6:7]
	s_cbranch_execz .LBB36_169
; %bb.166:
	v_cmp_eq_f32_e32 vcc, v9, v11
	s_mov_b64 s[2:3], 0
	s_and_saveexec_b64 s[6:7], vcc
; %bb.167:
	v_cmp_lt_f32_e32 vcc, v10, v12
	s_and_b64 s[2:3], vcc, exec
; %bb.168:
	s_or_b64 exec, exec, s[6:7]
	s_orn2_b64 s[2:3], s[2:3], exec
.LBB36_169:
	s_or_b64 exec, exec, s[0:1]
	s_and_b64 s[2:3], s[2:3], exec
.LBB36_170:
	s_or_b64 exec, exec, s[4:5]
	s_xor_b64 s[0:1], s[2:3], -1
                                        ; implicit-def: $vgpr15
	s_and_saveexec_b64 s[4:5], s[0:1]
	s_xor_b64 s[0:1], exec, s[4:5]
; %bb.171:
	ds_read_b64 v[15:16], v16 offset:8
                                        ; implicit-def: $vgpr19
; %bb.172:
	s_andn2_saveexec_b64 s[0:1], s[0:1]
	s_cbranch_execz .LBB36_174
; %bb.173:
	ds_read_b64 v[13:14], v19 offset:264
	s_waitcnt lgkmcnt(1)
	v_mov_b32_e32 v16, v12
	v_mov_b32_e32 v15, v11
.LBB36_174:
	s_or_b64 exec, exec, s[0:1]
	v_add_u32_e32 v31, v18, v17
	v_add_u32_e32 v17, 1, v29
	;; [unrolled: 1-line block ×3, first 2 shown]
	v_cndmask_b32_e64 v32, v29, v17, s[2:3]
	v_cndmask_b32_e64 v33, v18, v31, s[2:3]
	v_cmp_lt_i32_e32 vcc, v32, v30
	s_mov_b64 s[4:5], 0
	s_and_saveexec_b64 s[6:7], vcc
	s_cbranch_execz .LBB36_180
; %bb.175:
	v_cmp_lt_i32_e32 vcc, v33, v28
	s_waitcnt lgkmcnt(0)
	v_cmp_nlt_f32_e64 s[0:1], v13, v15
	s_and_b64 s[8:9], vcc, s[0:1]
	s_mov_b64 s[4:5], -1
	s_and_saveexec_b64 s[0:1], s[8:9]
	s_cbranch_execz .LBB36_179
; %bb.176:
	v_cmp_eq_f32_e32 vcc, v13, v15
	s_mov_b64 s[4:5], 0
	s_and_saveexec_b64 s[8:9], vcc
; %bb.177:
	v_cmp_lt_f32_e32 vcc, v14, v16
	s_and_b64 s[4:5], vcc, exec
; %bb.178:
	s_or_b64 exec, exec, s[8:9]
	s_orn2_b64 s[4:5], s[4:5], exec
.LBB36_179:
	s_or_b64 exec, exec, s[0:1]
	s_and_b64 s[4:5], s[4:5], exec
.LBB36_180:
	s_or_b64 exec, exec, s[6:7]
	s_xor_b64 s[0:1], s[4:5], -1
                                        ; implicit-def: $vgpr17
	s_and_saveexec_b64 s[6:7], s[0:1]
	s_xor_b64 s[0:1], exec, s[6:7]
; %bb.181:
	v_lshl_add_u32 v17, v33, 3, v0
	ds_read_b64 v[17:18], v17 offset:8
; %bb.182:
	s_or_saveexec_b64 s[0:1], s[0:1]
	s_waitcnt lgkmcnt(0)
	v_mov_b32_e32 v19, v13
	v_mov_b32_e32 v20, v14
	s_xor_b64 exec, exec, s[0:1]
; %bb.183:
	v_lshl_add_u32 v17, v32, 3, v0
	ds_read_b64 v[19:20], v17 offset:8
	v_mov_b32_e32 v18, v16
	v_mov_b32_e32 v17, v15
; %bb.184:
	s_or_b64 exec, exec, s[0:1]
	v_add_u32_e32 v21, 1, v32
	v_add_u32_e32 v22, 1, v33
	v_cndmask_b32_e64 v34, v32, v21, s[4:5]
	v_cndmask_b32_e64 v35, v22, v33, s[4:5]
	v_cmp_lt_i32_e32 vcc, v34, v30
	s_mov_b64 s[6:7], 0
	s_and_saveexec_b64 s[8:9], vcc
	s_cbranch_execz .LBB36_190
; %bb.185:
	v_cmp_lt_i32_e32 vcc, v35, v28
	s_waitcnt lgkmcnt(0)
	v_cmp_nlt_f32_e64 s[0:1], v19, v17
	s_and_b64 s[10:11], vcc, s[0:1]
	s_mov_b64 s[6:7], -1
	s_and_saveexec_b64 s[0:1], s[10:11]
	s_cbranch_execz .LBB36_189
; %bb.186:
	v_cmp_eq_f32_e32 vcc, v19, v17
	s_mov_b64 s[6:7], 0
	s_and_saveexec_b64 s[10:11], vcc
; %bb.187:
	v_cmp_lt_f32_e32 vcc, v20, v18
	s_and_b64 s[6:7], vcc, exec
; %bb.188:
	s_or_b64 exec, exec, s[10:11]
	s_orn2_b64 s[6:7], s[6:7], exec
.LBB36_189:
	s_or_b64 exec, exec, s[0:1]
	s_and_b64 s[6:7], s[6:7], exec
.LBB36_190:
	s_or_b64 exec, exec, s[8:9]
	s_xor_b64 s[0:1], s[6:7], -1
                                        ; implicit-def: $vgpr21
	s_and_saveexec_b64 s[8:9], s[0:1]
	s_xor_b64 s[0:1], exec, s[8:9]
; %bb.191:
	v_lshl_add_u32 v21, v35, 3, v0
	ds_read_b64 v[21:22], v21 offset:8
; %bb.192:
	s_or_saveexec_b64 s[0:1], s[0:1]
	s_waitcnt lgkmcnt(0)
	v_mov_b32_e32 v23, v19
	v_mov_b32_e32 v24, v20
	s_xor_b64 exec, exec, s[0:1]
; %bb.193:
	v_lshl_add_u32 v21, v34, 3, v0
	ds_read_b64 v[23:24], v21 offset:8
	v_mov_b32_e32 v22, v18
	v_mov_b32_e32 v21, v17
; %bb.194:
	s_or_b64 exec, exec, s[0:1]
	v_add_u32_e32 v36, 1, v34
	v_add_u32_e32 v37, 1, v35
	v_cndmask_b32_e64 v36, v34, v36, s[6:7]
	v_cndmask_b32_e64 v37, v37, v35, s[6:7]
	v_cmp_lt_i32_e32 vcc, v36, v30
	s_mov_b64 s[0:1], 0
	s_and_saveexec_b64 s[8:9], vcc
	s_cbranch_execz .LBB36_200
; %bb.195:
	v_cmp_lt_i32_e32 vcc, v37, v28
	s_waitcnt lgkmcnt(0)
	v_cmp_nlt_f32_e64 s[0:1], v23, v21
	s_and_b64 s[12:13], vcc, s[0:1]
	s_mov_b64 s[10:11], -1
	s_and_saveexec_b64 s[0:1], s[12:13]
	s_cbranch_execz .LBB36_199
; %bb.196:
	v_cmp_eq_f32_e32 vcc, v23, v21
	s_mov_b64 s[10:11], 0
	s_and_saveexec_b64 s[12:13], vcc
; %bb.197:
	v_cmp_lt_f32_e32 vcc, v24, v22
	s_and_b64 s[10:11], vcc, exec
; %bb.198:
	s_or_b64 exec, exec, s[12:13]
	s_orn2_b64 s[10:11], s[10:11], exec
.LBB36_199:
	s_or_b64 exec, exec, s[0:1]
	s_and_b64 s[0:1], s[10:11], exec
.LBB36_200:
	s_or_b64 exec, exec, s[8:9]
	v_cndmask_b32_e64 v17, v17, v19, s[6:7]
	v_cndmask_b32_e64 v18, v18, v20, s[6:7]
	;; [unrolled: 1-line block ×8, first 2 shown]
	; wave barrier
	ds_write2_b64 v27, v[3:4], v[5:6] offset1:1
	v_lshl_add_u32 v3, v16, 2, v0
	v_lshl_add_u32 v4, v15, 2, v0
	;; [unrolled: 1-line block ×4, first 2 shown]
	; wave barrier
	ds_read_b32 v3, v3
	ds_read_b32 v4, v4
	;; [unrolled: 1-line block ×4, first 2 shown]
	v_cndmask_b32_e64 v9, v11, v9, s[2:3]
	v_cndmask_b32_e64 v10, v12, v10, s[2:3]
	s_waitcnt lgkmcnt(5)
	v_cndmask_b32_e64 v11, v21, v23, s[0:1]
	v_cndmask_b32_e64 v12, v22, v24, s[0:1]
	; wave barrier
	ds_write2_b64 v26, v[9:10], v[13:14] offset1:1
	ds_write2_b64 v26, v[17:18], v[11:12] offset0:2 offset1:3
	v_sub_u32_e64 v28, v25, 64 clamp
	v_min_i32_e32 v9, 64, v25
	v_cmp_lt_u32_e32 vcc, v28, v9
	; wave barrier
	s_and_saveexec_b64 s[0:1], vcc
	s_cbranch_execz .LBB36_208
; %bb.201:
	s_mov_b64 s[2:3], 0
                                        ; implicit-def: $sgpr4_sgpr5
	s_branch .LBB36_204
.LBB36_202:                             ;   in Loop: Header=BB36_204 Depth=1
	s_or_b64 exec, exec, s[10:11]
	s_andn2_b64 s[4:5], s[4:5], exec
	s_and_b64 s[8:9], s[8:9], exec
	s_or_b64 s[4:5], s[4:5], s[8:9]
.LBB36_203:                             ;   in Loop: Header=BB36_204 Depth=1
	s_or_b64 exec, exec, s[6:7]
	v_add_u32_e32 v11, 1, v10
	v_cndmask_b32_e64 v9, v9, v10, s[4:5]
	v_cndmask_b32_e64 v28, v11, v28, s[4:5]
	v_cmp_ge_i32_e32 vcc, v28, v9
	s_or_b64 s[2:3], vcc, s[2:3]
	s_andn2_b64 exec, exec, s[2:3]
	s_cbranch_execz .LBB36_207
.LBB36_204:                             ; =>This Inner Loop Header: Depth=1
	v_sub_u32_e32 v10, v9, v28
	v_lshrrev_b32_e32 v10, 1, v10
	v_add_u32_e32 v10, v10, v28
	v_lshl_add_u32 v11, v10, 3, v0
	v_not_b32_e32 v12, v10
	v_lshl_add_u32 v12, v12, 3, v26
	ds_read_b32 v13, v11
	ds_read_b32 v14, v12 offset:512
	s_or_b64 s[4:5], s[4:5], exec
	s_waitcnt lgkmcnt(0)
	v_cmp_nlt_f32_e32 vcc, v14, v13
	s_and_saveexec_b64 s[6:7], vcc
	s_cbranch_execz .LBB36_203
; %bb.205:                              ;   in Loop: Header=BB36_204 Depth=1
	v_cmp_eq_f32_e32 vcc, v14, v13
	s_mov_b64 s[8:9], 0
	s_and_saveexec_b64 s[10:11], vcc
	s_cbranch_execz .LBB36_202
; %bb.206:                              ;   in Loop: Header=BB36_204 Depth=1
	ds_read_b32 v12, v12 offset:516
	ds_read_b32 v11, v11 offset:4
	s_waitcnt lgkmcnt(0)
	v_cmp_lt_f32_e32 vcc, v12, v11
	s_and_b64 s[8:9], vcc, exec
	s_branch .LBB36_202
.LBB36_207:
	s_or_b64 exec, exec, s[2:3]
.LBB36_208:
	s_or_b64 exec, exec, s[0:1]
	v_sub_u32_e32 v13, v25, v28
	v_lshl_add_u32 v17, v13, 3, v0
	ds_read_b64 v[9:10], v17 offset:512
	v_lshl_add_u32 v16, v28, 3, v0
	ds_read_b64 v[11:12], v16
	v_add_u32_e32 v25, 64, v13
	s_movk_i32 s0, 0x80
	s_waitcnt lgkmcnt(1)
	v_mov_b32_e32 v13, v9
	v_mov_b32_e32 v14, v10
	v_cmp_gt_i32_e32 vcc, s0, v25
	s_mov_b64 s[2:3], 0
	s_and_saveexec_b64 s[4:5], vcc
	s_cbranch_execz .LBB36_214
; %bb.209:
	v_cmp_gt_i32_e32 vcc, 64, v28
	s_waitcnt lgkmcnt(0)
	v_cmp_nlt_f32_e64 s[0:1], v9, v11
	s_and_b64 s[6:7], vcc, s[0:1]
	s_mov_b64 s[2:3], -1
	s_and_saveexec_b64 s[0:1], s[6:7]
	s_cbranch_execz .LBB36_213
; %bb.210:
	v_cmp_eq_f32_e32 vcc, v9, v11
	s_mov_b64 s[2:3], 0
	s_and_saveexec_b64 s[6:7], vcc
; %bb.211:
	v_cmp_lt_f32_e32 vcc, v10, v12
	s_and_b64 s[2:3], vcc, exec
; %bb.212:
	s_or_b64 exec, exec, s[6:7]
	s_orn2_b64 s[2:3], s[2:3], exec
.LBB36_213:
	s_or_b64 exec, exec, s[0:1]
	s_and_b64 s[2:3], s[2:3], exec
.LBB36_214:
	s_or_b64 exec, exec, s[4:5]
	s_xor_b64 s[0:1], s[2:3], -1
                                        ; implicit-def: $vgpr15
	s_and_saveexec_b64 s[4:5], s[0:1]
	s_xor_b64 s[0:1], exec, s[4:5]
; %bb.215:
	ds_read_b64 v[15:16], v16 offset:8
                                        ; implicit-def: $vgpr17
; %bb.216:
	s_andn2_saveexec_b64 s[0:1], s[0:1]
	s_cbranch_execz .LBB36_218
; %bb.217:
	ds_read_b64 v[13:14], v17 offset:520
	s_waitcnt lgkmcnt(1)
	v_mov_b32_e32 v16, v12
	v_mov_b32_e32 v15, v11
.LBB36_218:
	s_or_b64 exec, exec, s[0:1]
	v_add_u32_e32 v17, 1, v25
	v_add_u32_e32 v18, 1, v28
	v_cndmask_b32_e64 v26, v25, v17, s[2:3]
	s_movk_i32 s0, 0x80
	v_cndmask_b32_e64 v29, v18, v28, s[2:3]
	v_cmp_gt_i32_e32 vcc, s0, v26
	s_mov_b64 s[4:5], 0
	s_and_saveexec_b64 s[6:7], vcc
	s_cbranch_execz .LBB36_224
; %bb.219:
	v_cmp_gt_i32_e32 vcc, 64, v29
	s_waitcnt lgkmcnt(0)
	v_cmp_nlt_f32_e64 s[0:1], v13, v15
	s_and_b64 s[8:9], vcc, s[0:1]
	s_mov_b64 s[4:5], -1
	s_and_saveexec_b64 s[0:1], s[8:9]
	s_cbranch_execz .LBB36_223
; %bb.220:
	v_cmp_eq_f32_e32 vcc, v13, v15
	s_mov_b64 s[4:5], 0
	s_and_saveexec_b64 s[8:9], vcc
; %bb.221:
	v_cmp_lt_f32_e32 vcc, v14, v16
	s_and_b64 s[4:5], vcc, exec
; %bb.222:
	s_or_b64 exec, exec, s[8:9]
	s_orn2_b64 s[4:5], s[4:5], exec
.LBB36_223:
	s_or_b64 exec, exec, s[0:1]
	s_and_b64 s[4:5], s[4:5], exec
.LBB36_224:
	s_or_b64 exec, exec, s[6:7]
	s_xor_b64 s[0:1], s[4:5], -1
                                        ; implicit-def: $vgpr17
	s_and_saveexec_b64 s[6:7], s[0:1]
	s_xor_b64 s[0:1], exec, s[6:7]
; %bb.225:
	v_lshl_add_u32 v17, v29, 3, v0
	ds_read_b64 v[17:18], v17 offset:8
; %bb.226:
	s_or_saveexec_b64 s[0:1], s[0:1]
	s_waitcnt lgkmcnt(0)
	v_mov_b32_e32 v19, v13
	v_mov_b32_e32 v20, v14
	s_xor_b64 exec, exec, s[0:1]
; %bb.227:
	v_lshl_add_u32 v17, v26, 3, v0
	ds_read_b64 v[19:20], v17 offset:8
	v_mov_b32_e32 v18, v16
	v_mov_b32_e32 v17, v15
; %bb.228:
	s_or_b64 exec, exec, s[0:1]
	v_add_u32_e32 v21, 1, v26
	v_add_u32_e32 v22, 1, v29
	v_cndmask_b32_e64 v30, v26, v21, s[4:5]
	s_movk_i32 s0, 0x80
	v_cndmask_b32_e64 v31, v22, v29, s[4:5]
	v_cmp_gt_i32_e32 vcc, s0, v30
	s_mov_b64 s[6:7], 0
	s_and_saveexec_b64 s[8:9], vcc
	s_cbranch_execz .LBB36_234
; %bb.229:
	v_cmp_gt_i32_e32 vcc, 64, v31
	s_waitcnt lgkmcnt(0)
	v_cmp_nlt_f32_e64 s[0:1], v19, v17
	s_and_b64 s[10:11], vcc, s[0:1]
	s_mov_b64 s[6:7], -1
	s_and_saveexec_b64 s[0:1], s[10:11]
	s_cbranch_execz .LBB36_233
; %bb.230:
	v_cmp_eq_f32_e32 vcc, v19, v17
	s_mov_b64 s[6:7], 0
	s_and_saveexec_b64 s[10:11], vcc
; %bb.231:
	v_cmp_lt_f32_e32 vcc, v20, v18
	s_and_b64 s[6:7], vcc, exec
; %bb.232:
	s_or_b64 exec, exec, s[10:11]
	s_orn2_b64 s[6:7], s[6:7], exec
.LBB36_233:
	s_or_b64 exec, exec, s[0:1]
	s_and_b64 s[6:7], s[6:7], exec
.LBB36_234:
	s_or_b64 exec, exec, s[8:9]
	s_xor_b64 s[0:1], s[6:7], -1
                                        ; implicit-def: $vgpr21
	s_and_saveexec_b64 s[8:9], s[0:1]
	s_xor_b64 s[0:1], exec, s[8:9]
; %bb.235:
	v_lshl_add_u32 v21, v31, 3, v0
	ds_read_b64 v[21:22], v21 offset:8
; %bb.236:
	s_or_saveexec_b64 s[0:1], s[0:1]
	s_waitcnt lgkmcnt(0)
	v_mov_b32_e32 v23, v19
	v_mov_b32_e32 v24, v20
	s_xor_b64 exec, exec, s[0:1]
; %bb.237:
	v_lshl_add_u32 v21, v30, 3, v0
	ds_read_b64 v[23:24], v21 offset:8
	v_mov_b32_e32 v22, v18
	v_mov_b32_e32 v21, v17
; %bb.238:
	s_or_b64 exec, exec, s[0:1]
	v_add_u32_e32 v32, 1, v30
	v_add_u32_e32 v33, 1, v31
	v_cndmask_b32_e64 v32, v30, v32, s[6:7]
	s_movk_i32 s0, 0x80
	v_cndmask_b32_e64 v33, v33, v31, s[6:7]
	v_cmp_gt_i32_e32 vcc, s0, v32
	s_mov_b64 s[0:1], 0
	s_and_saveexec_b64 s[8:9], vcc
	s_cbranch_execz .LBB36_244
; %bb.239:
	v_cmp_gt_i32_e32 vcc, 64, v33
	s_waitcnt lgkmcnt(0)
	v_cmp_nlt_f32_e64 s[0:1], v23, v21
	s_and_b64 s[12:13], vcc, s[0:1]
	s_mov_b64 s[10:11], -1
	s_and_saveexec_b64 s[0:1], s[12:13]
	s_cbranch_execz .LBB36_243
; %bb.240:
	v_cmp_eq_f32_e32 vcc, v23, v21
	s_mov_b64 s[10:11], 0
	s_and_saveexec_b64 s[12:13], vcc
; %bb.241:
	v_cmp_lt_f32_e32 vcc, v24, v22
	s_and_b64 s[10:11], vcc, exec
; %bb.242:
	s_or_b64 exec, exec, s[12:13]
	s_orn2_b64 s[10:11], s[10:11], exec
.LBB36_243:
	s_or_b64 exec, exec, s[0:1]
	s_and_b64 s[0:1], s[10:11], exec
.LBB36_244:
	s_or_b64 exec, exec, s[8:9]
	v_cndmask_b32_e64 v13, v15, v13, s[4:5]
	v_cndmask_b32_e64 v12, v12, v10, s[2:3]
	;; [unrolled: 1-line block ×8, first 2 shown]
	; wave barrier
	ds_write2_b64 v27, v[3:4], v[5:6] offset1:1
	v_lshl_add_u32 v3, v15, 2, v0
	v_lshl_add_u32 v4, v10, 2, v0
	v_lshl_add_u32 v5, v9, 2, v0
	; wave barrier
	v_lshl_add_u32 v0, v16, 2, v0
	ds_read_b32 v3, v3
	ds_read_b32 v4, v4
	;; [unrolled: 1-line block ×4, first 2 shown]
	v_cndmask_b32_e64 v18, v18, v20, s[6:7]
	v_cndmask_b32_e64 v17, v17, v19, s[6:7]
	s_waitcnt lgkmcnt(5)
	v_cndmask_b32_e64 v19, v21, v23, s[0:1]
	v_cndmask_b32_e64 v20, v22, v24, s[0:1]
	global_store_dwordx4 v[7:8], v[11:14], off
	global_store_dwordx4 v[7:8], v[17:20], off offset:16
	s_waitcnt lgkmcnt(0)
	global_store_dwordx4 v[1:2], v[3:6], off
	s_endpgm
	.section	.rodata,"a",@progbits
	.p2align	6, 0x0
	.amdhsa_kernel _Z21sort_keys_values_fullILj256ELj32ELj4ELb0EN10test_utils16custom_test_typeIfEEiNS0_4lessEEvPT3_PT4_T5_
		.amdhsa_group_segment_fixed_size 8256
		.amdhsa_private_segment_fixed_size 0
		.amdhsa_kernarg_size 20
		.amdhsa_user_sgpr_count 6
		.amdhsa_user_sgpr_private_segment_buffer 1
		.amdhsa_user_sgpr_dispatch_ptr 0
		.amdhsa_user_sgpr_queue_ptr 0
		.amdhsa_user_sgpr_kernarg_segment_ptr 1
		.amdhsa_user_sgpr_dispatch_id 0
		.amdhsa_user_sgpr_flat_scratch_init 0
		.amdhsa_user_sgpr_private_segment_size 0
		.amdhsa_uses_dynamic_stack 0
		.amdhsa_system_sgpr_private_segment_wavefront_offset 0
		.amdhsa_system_sgpr_workgroup_id_x 1
		.amdhsa_system_sgpr_workgroup_id_y 0
		.amdhsa_system_sgpr_workgroup_id_z 0
		.amdhsa_system_sgpr_workgroup_info 0
		.amdhsa_system_vgpr_workitem_id 0
		.amdhsa_next_free_vgpr 39
		.amdhsa_next_free_sgpr 77
		.amdhsa_reserve_vcc 1
		.amdhsa_reserve_flat_scratch 0
		.amdhsa_float_round_mode_32 0
		.amdhsa_float_round_mode_16_64 0
		.amdhsa_float_denorm_mode_32 3
		.amdhsa_float_denorm_mode_16_64 3
		.amdhsa_dx10_clamp 1
		.amdhsa_ieee_mode 1
		.amdhsa_fp16_overflow 0
		.amdhsa_exception_fp_ieee_invalid_op 0
		.amdhsa_exception_fp_denorm_src 0
		.amdhsa_exception_fp_ieee_div_zero 0
		.amdhsa_exception_fp_ieee_overflow 0
		.amdhsa_exception_fp_ieee_underflow 0
		.amdhsa_exception_fp_ieee_inexact 0
		.amdhsa_exception_int_div_zero 0
	.end_amdhsa_kernel
	.section	.text._Z21sort_keys_values_fullILj256ELj32ELj4ELb0EN10test_utils16custom_test_typeIfEEiNS0_4lessEEvPT3_PT4_T5_,"axG",@progbits,_Z21sort_keys_values_fullILj256ELj32ELj4ELb0EN10test_utils16custom_test_typeIfEEiNS0_4lessEEvPT3_PT4_T5_,comdat
.Lfunc_end36:
	.size	_Z21sort_keys_values_fullILj256ELj32ELj4ELb0EN10test_utils16custom_test_typeIfEEiNS0_4lessEEvPT3_PT4_T5_, .Lfunc_end36-_Z21sort_keys_values_fullILj256ELj32ELj4ELb0EN10test_utils16custom_test_typeIfEEiNS0_4lessEEvPT3_PT4_T5_
                                        ; -- End function
	.set _Z21sort_keys_values_fullILj256ELj32ELj4ELb0EN10test_utils16custom_test_typeIfEEiNS0_4lessEEvPT3_PT4_T5_.num_vgpr, 39
	.set _Z21sort_keys_values_fullILj256ELj32ELj4ELb0EN10test_utils16custom_test_typeIfEEiNS0_4lessEEvPT3_PT4_T5_.num_agpr, 0
	.set _Z21sort_keys_values_fullILj256ELj32ELj4ELb0EN10test_utils16custom_test_typeIfEEiNS0_4lessEEvPT3_PT4_T5_.numbered_sgpr, 14
	.set _Z21sort_keys_values_fullILj256ELj32ELj4ELb0EN10test_utils16custom_test_typeIfEEiNS0_4lessEEvPT3_PT4_T5_.num_named_barrier, 0
	.set _Z21sort_keys_values_fullILj256ELj32ELj4ELb0EN10test_utils16custom_test_typeIfEEiNS0_4lessEEvPT3_PT4_T5_.private_seg_size, 0
	.set _Z21sort_keys_values_fullILj256ELj32ELj4ELb0EN10test_utils16custom_test_typeIfEEiNS0_4lessEEvPT3_PT4_T5_.uses_vcc, 1
	.set _Z21sort_keys_values_fullILj256ELj32ELj4ELb0EN10test_utils16custom_test_typeIfEEiNS0_4lessEEvPT3_PT4_T5_.uses_flat_scratch, 0
	.set _Z21sort_keys_values_fullILj256ELj32ELj4ELb0EN10test_utils16custom_test_typeIfEEiNS0_4lessEEvPT3_PT4_T5_.has_dyn_sized_stack, 0
	.set _Z21sort_keys_values_fullILj256ELj32ELj4ELb0EN10test_utils16custom_test_typeIfEEiNS0_4lessEEvPT3_PT4_T5_.has_recursion, 0
	.set _Z21sort_keys_values_fullILj256ELj32ELj4ELb0EN10test_utils16custom_test_typeIfEEiNS0_4lessEEvPT3_PT4_T5_.has_indirect_call, 0
	.section	.AMDGPU.csdata,"",@progbits
; Kernel info:
; codeLenInByte = 6376
; TotalNumSgprs: 18
; NumVgprs: 39
; ScratchSize: 0
; MemoryBound: 0
; FloatMode: 240
; IeeeMode: 1
; LDSByteSize: 8256 bytes/workgroup (compile time only)
; SGPRBlocks: 10
; VGPRBlocks: 9
; NumSGPRsForWavesPerEU: 81
; NumVGPRsForWavesPerEU: 39
; Occupancy: 6
; WaveLimiterHint : 0
; COMPUTE_PGM_RSRC2:SCRATCH_EN: 0
; COMPUTE_PGM_RSRC2:USER_SGPR: 6
; COMPUTE_PGM_RSRC2:TRAP_HANDLER: 0
; COMPUTE_PGM_RSRC2:TGID_X_EN: 1
; COMPUTE_PGM_RSRC2:TGID_Y_EN: 0
; COMPUTE_PGM_RSRC2:TGID_Z_EN: 0
; COMPUTE_PGM_RSRC2:TIDIG_COMP_CNT: 0
	.section	.text._Z21sort_keys_values_fullILj256ELj32ELj2ELb0EN10test_utils16custom_test_typeIfEEyNS0_4lessEEvPT3_PT4_T5_,"axG",@progbits,_Z21sort_keys_values_fullILj256ELj32ELj2ELb0EN10test_utils16custom_test_typeIfEEyNS0_4lessEEvPT3_PT4_T5_,comdat
	.protected	_Z21sort_keys_values_fullILj256ELj32ELj2ELb0EN10test_utils16custom_test_typeIfEEyNS0_4lessEEvPT3_PT4_T5_ ; -- Begin function _Z21sort_keys_values_fullILj256ELj32ELj2ELb0EN10test_utils16custom_test_typeIfEEyNS0_4lessEEvPT3_PT4_T5_
	.globl	_Z21sort_keys_values_fullILj256ELj32ELj2ELb0EN10test_utils16custom_test_typeIfEEyNS0_4lessEEvPT3_PT4_T5_
	.p2align	8
	.type	_Z21sort_keys_values_fullILj256ELj32ELj2ELb0EN10test_utils16custom_test_typeIfEEyNS0_4lessEEvPT3_PT4_T5_,@function
_Z21sort_keys_values_fullILj256ELj32ELj2ELb0EN10test_utils16custom_test_typeIfEEyNS0_4lessEEvPT3_PT4_T5_: ; @_Z21sort_keys_values_fullILj256ELj32ELj2ELb0EN10test_utils16custom_test_typeIfEEyNS0_4lessEEvPT3_PT4_T5_
; %bb.0:
	s_load_dwordx4 s[0:3], s[4:5], 0x0
	s_lshl_b32 s4, s6, 9
	s_mov_b32 s5, 0
	s_lshl_b64 s[6:7], s[4:5], 3
	v_lshlrev_b32_e32 v13, 4, v0
	s_waitcnt lgkmcnt(0)
	s_add_u32 s4, s0, s6
	s_addc_u32 s5, s1, s7
	s_add_u32 s6, s2, s6
	global_load_dwordx4 v[1:4], v13, s[4:5]
	s_addc_u32 s7, s3, s7
	global_load_dwordx4 v[5:8], v13, s[6:7]
	v_mov_b32_e32 v20, 0
	v_mov_b32_e32 v15, s5
	;; [unrolled: 1-line block ×3, first 2 shown]
	s_waitcnt vmcnt(1)
	v_cmp_eq_f32_e64 s[0:1], v3, v1
	v_cmp_lt_f32_e64 s[2:3], v4, v2
	v_cmp_lt_f32_e32 vcc, v3, v1
	s_and_b64 s[0:1], s[0:1], s[2:3]
	s_waitcnt vmcnt(0)
	v_mov_b32_e32 v10, v6
	v_mov_b32_e32 v16, v3
	;; [unrolled: 1-line block ×5, first 2 shown]
	s_or_b64 s[2:3], vcc, s[0:1]
	v_mov_b32_e32 v9, v5
	s_and_saveexec_b64 s[0:1], s[2:3]
; %bb.1:
	v_mov_b32_e32 v10, v8
	v_mov_b32_e32 v9, v7
	;; [unrolled: 1-line block ×8, first 2 shown]
; %bb.2:
	s_or_b64 exec, exec, s[0:1]
	v_add_co_u32_e32 v5, vcc, s4, v13
	v_addc_co_u32_e32 v6, vcc, 0, v15, vcc
	v_add_co_u32_e32 v3, vcc, s6, v13
	v_mbcnt_lo_u32_b32 v13, -1, 0
	v_mbcnt_hi_u32_b32 v13, -1, v13
	v_lshlrev_b32_e32 v19, 1, v13
	v_and_b32_e32 v18, 62, v19
	v_lshrrev_b32_e32 v0, 5, v0
	s_movk_i32 s0, 0x208
	v_lshlrev_b32_e32 v13, 3, v18
	v_and_b32_e32 v22, 60, v19
	v_mad_u32_u24 v17, v0, s0, v13
	v_or_b32_e32 v21, 2, v22
	; wave barrier
	ds_write2_b64 v17, v[1:2], v[11:12] offset1:1
	v_and_b32_e32 v11, 2, v19
	v_sub_u32_e32 v1, v21, v22
	v_addc_co_u32_e32 v4, vcc, 0, v14, vcc
	v_lshlrev_b32_e32 v2, 3, v22
	v_min_i32_e32 v1, v11, v1
	v_mad_u32_u24 v12, v0, s0, v2
	v_cmp_lt_i32_e32 vcc, 0, v1
	; wave barrier
	s_and_saveexec_b64 s[0:1], vcc
	s_cbranch_execz .LBB37_10
; %bb.3:
	v_lshl_add_u32 v2, v11, 3, v12
	v_mov_b32_e32 v20, 0
	s_mov_b64 s[2:3], 0
                                        ; implicit-def: $sgpr4_sgpr5
	s_branch .LBB37_6
.LBB37_4:                               ;   in Loop: Header=BB37_6 Depth=1
	s_or_b64 exec, exec, s[10:11]
	s_andn2_b64 s[4:5], s[4:5], exec
	s_and_b64 s[8:9], s[8:9], exec
	s_or_b64 s[4:5], s[4:5], s[8:9]
.LBB37_5:                               ;   in Loop: Header=BB37_6 Depth=1
	s_or_b64 exec, exec, s[6:7]
	v_add_u32_e32 v14, 1, v13
	v_cndmask_b32_e64 v1, v1, v13, s[4:5]
	v_cndmask_b32_e64 v20, v14, v20, s[4:5]
	v_cmp_ge_i32_e32 vcc, v20, v1
	s_or_b64 s[2:3], vcc, s[2:3]
	s_andn2_b64 exec, exec, s[2:3]
	s_cbranch_execz .LBB37_9
.LBB37_6:                               ; =>This Inner Loop Header: Depth=1
	v_sub_u32_e32 v13, v1, v20
	v_lshrrev_b32_e32 v13, 1, v13
	v_add_u32_e32 v13, v13, v20
	v_lshl_add_u32 v14, v13, 3, v12
	v_not_b32_e32 v15, v13
	v_lshl_add_u32 v15, v15, 3, v2
	ds_read_b32 v16, v14
	ds_read_b32 v23, v15 offset:16
	s_or_b64 s[4:5], s[4:5], exec
	s_waitcnt lgkmcnt(0)
	v_cmp_nlt_f32_e32 vcc, v23, v16
	s_and_saveexec_b64 s[6:7], vcc
	s_cbranch_execz .LBB37_5
; %bb.7:                                ;   in Loop: Header=BB37_6 Depth=1
	v_cmp_eq_f32_e32 vcc, v23, v16
	s_mov_b64 s[8:9], 0
	s_and_saveexec_b64 s[10:11], vcc
	s_cbranch_execz .LBB37_4
; %bb.8:                                ;   in Loop: Header=BB37_6 Depth=1
	ds_read_b32 v15, v15 offset:20
	ds_read_b32 v14, v14 offset:4
	s_waitcnt lgkmcnt(0)
	v_cmp_lt_f32_e32 vcc, v15, v14
	s_and_b64 s[8:9], vcc, exec
	s_branch .LBB37_4
.LBB37_9:
	s_or_b64 exec, exec, s[2:3]
.LBB37_10:
	s_or_b64 exec, exec, s[0:1]
	v_mul_u32_u24_e32 v2, 0x208, v0
	v_add_u32_e32 v0, v22, v11
	v_sub_u32_e32 v0, v0, v20
	v_lshl_add_u32 v25, v0, 3, v2
	ds_read_b64 v[0:1], v25 offset:16
	v_lshl_add_u32 v16, v20, 3, v12
	ds_read_b64 v[13:14], v16
	v_add_u32_e32 v11, v21, v11
	v_add_u32_e32 v24, 4, v22
	v_sub_u32_e32 v23, v11, v20
	s_waitcnt lgkmcnt(1)
	v_mov_b32_e32 v11, v0
	v_mov_b32_e32 v12, v1
	v_cmp_gt_i32_e32 vcc, v24, v23
	s_mov_b64 s[2:3], 0
	s_and_saveexec_b64 s[4:5], vcc
	s_cbranch_execz .LBB37_16
; %bb.11:
	v_cmp_gt_i32_e32 vcc, 2, v20
	s_waitcnt lgkmcnt(0)
	v_cmp_nlt_f32_e64 s[0:1], v0, v13
	s_and_b64 s[6:7], vcc, s[0:1]
	s_mov_b64 s[2:3], -1
	s_and_saveexec_b64 s[0:1], s[6:7]
	s_cbranch_execz .LBB37_15
; %bb.12:
	v_cmp_eq_f32_e32 vcc, v0, v13
	s_mov_b64 s[2:3], 0
	s_and_saveexec_b64 s[6:7], vcc
; %bb.13:
	v_cmp_lt_f32_e32 vcc, v1, v14
	s_and_b64 s[2:3], vcc, exec
; %bb.14:
	s_or_b64 exec, exec, s[6:7]
	s_orn2_b64 s[2:3], s[2:3], exec
.LBB37_15:
	s_or_b64 exec, exec, s[0:1]
	s_and_b64 s[2:3], s[2:3], exec
.LBB37_16:
	s_or_b64 exec, exec, s[4:5]
	s_xor_b64 s[0:1], s[2:3], -1
                                        ; implicit-def: $vgpr15
	s_and_saveexec_b64 s[4:5], s[0:1]
	s_xor_b64 s[0:1], exec, s[4:5]
; %bb.17:
	ds_read_b64 v[15:16], v16 offset:8
                                        ; implicit-def: $vgpr25
; %bb.18:
	s_andn2_saveexec_b64 s[0:1], s[0:1]
	s_cbranch_execz .LBB37_20
; %bb.19:
	ds_read_b64 v[11:12], v25 offset:24
	s_waitcnt lgkmcnt(1)
	v_mov_b32_e32 v16, v14
	v_mov_b32_e32 v15, v13
.LBB37_20:
	s_or_b64 exec, exec, s[0:1]
	v_add_u32_e32 v20, v20, v22
	v_add_u32_e32 v22, 1, v23
	;; [unrolled: 1-line block ×3, first 2 shown]
	v_cndmask_b32_e64 v22, v23, v22, s[2:3]
	v_cndmask_b32_e64 v25, v25, v20, s[2:3]
	v_cmp_lt_i32_e32 vcc, v22, v24
	s_mov_b64 s[0:1], 0
	s_and_saveexec_b64 s[4:5], vcc
	s_cbranch_execz .LBB37_26
; %bb.21:
	v_cmp_lt_i32_e32 vcc, v25, v21
	s_waitcnt lgkmcnt(0)
	v_cmp_nlt_f32_e64 s[0:1], v11, v15
	s_and_b64 s[8:9], vcc, s[0:1]
	s_mov_b64 s[6:7], -1
	s_and_saveexec_b64 s[0:1], s[8:9]
	s_cbranch_execz .LBB37_25
; %bb.22:
	v_cmp_eq_f32_e32 vcc, v11, v15
	s_mov_b64 s[6:7], 0
	s_and_saveexec_b64 s[8:9], vcc
; %bb.23:
	v_cmp_lt_f32_e32 vcc, v12, v16
	s_and_b64 s[6:7], vcc, exec
; %bb.24:
	s_or_b64 exec, exec, s[8:9]
	s_orn2_b64 s[6:7], s[6:7], exec
.LBB37_25:
	s_or_b64 exec, exec, s[0:1]
	s_and_b64 s[0:1], s[6:7], exec
.LBB37_26:
	s_or_b64 exec, exec, s[4:5]
	s_waitcnt lgkmcnt(0)
	v_cndmask_b32_e64 v13, v13, v0, s[2:3]
	v_cndmask_b32_e64 v14, v14, v1, s[2:3]
	;; [unrolled: 1-line block ×4, first 2 shown]
	; wave barrier
	ds_write2_b64 v17, v[9:10], v[7:8] offset1:1
	v_lshl_add_u32 v0, v0, 3, v2
	v_lshl_add_u32 v7, v1, 3, v2
	; wave barrier
	ds_read_b64 v[0:1], v0
	ds_read_b64 v[7:8], v7
	v_and_b32_e32 v21, 56, v19
	v_cndmask_b32_e64 v11, v15, v11, s[0:1]
	v_cndmask_b32_e64 v12, v16, v12, s[0:1]
	v_or_b32_e32 v20, 4, v21
	; wave barrier
	ds_write2_b64 v17, v[13:14], v[11:12] offset1:1
	v_and_b32_e32 v13, 6, v19
	v_sub_u32_e32 v10, v20, v21
	v_sub_u32_e64 v22, v13, 4 clamp
	v_min_i32_e32 v10, v13, v10
	v_lshl_add_u32 v9, v21, 3, v2
	v_cmp_lt_i32_e32 vcc, v22, v10
	; wave barrier
	s_and_saveexec_b64 s[0:1], vcc
	s_cbranch_execz .LBB37_34
; %bb.27:
	v_lshl_add_u32 v11, v13, 3, v9
	s_mov_b64 s[2:3], 0
                                        ; implicit-def: $sgpr4_sgpr5
	s_branch .LBB37_30
.LBB37_28:                              ;   in Loop: Header=BB37_30 Depth=1
	s_or_b64 exec, exec, s[10:11]
	s_andn2_b64 s[4:5], s[4:5], exec
	s_and_b64 s[8:9], s[8:9], exec
	s_or_b64 s[4:5], s[4:5], s[8:9]
.LBB37_29:                              ;   in Loop: Header=BB37_30 Depth=1
	s_or_b64 exec, exec, s[6:7]
	v_add_u32_e32 v14, 1, v12
	v_cndmask_b32_e64 v10, v10, v12, s[4:5]
	v_cndmask_b32_e64 v22, v14, v22, s[4:5]
	v_cmp_ge_i32_e32 vcc, v22, v10
	s_or_b64 s[2:3], vcc, s[2:3]
	s_andn2_b64 exec, exec, s[2:3]
	s_cbranch_execz .LBB37_33
.LBB37_30:                              ; =>This Inner Loop Header: Depth=1
	v_sub_u32_e32 v12, v10, v22
	v_lshrrev_b32_e32 v12, 1, v12
	v_add_u32_e32 v12, v12, v22
	v_lshl_add_u32 v14, v12, 3, v9
	v_not_b32_e32 v15, v12
	v_lshl_add_u32 v15, v15, 3, v11
	ds_read_b32 v16, v14
	ds_read_b32 v23, v15 offset:32
	s_or_b64 s[4:5], s[4:5], exec
	s_waitcnt lgkmcnt(0)
	v_cmp_nlt_f32_e32 vcc, v23, v16
	s_and_saveexec_b64 s[6:7], vcc
	s_cbranch_execz .LBB37_29
; %bb.31:                               ;   in Loop: Header=BB37_30 Depth=1
	v_cmp_eq_f32_e32 vcc, v23, v16
	s_mov_b64 s[8:9], 0
	s_and_saveexec_b64 s[10:11], vcc
	s_cbranch_execz .LBB37_28
; %bb.32:                               ;   in Loop: Header=BB37_30 Depth=1
	ds_read_b32 v15, v15 offset:36
	ds_read_b32 v14, v14 offset:4
	s_waitcnt lgkmcnt(0)
	v_cmp_lt_f32_e32 vcc, v15, v14
	s_and_b64 s[8:9], vcc, exec
	s_branch .LBB37_28
.LBB37_33:
	s_or_b64 exec, exec, s[2:3]
.LBB37_34:
	s_or_b64 exec, exec, s[0:1]
	v_lshl_add_u32 v16, v22, 3, v9
	v_add_u32_e32 v9, v21, v13
	v_sub_u32_e32 v9, v9, v22
	v_lshl_add_u32 v25, v9, 3, v2
	ds_read_b64 v[9:10], v25 offset:32
	ds_read_b64 v[11:12], v16
	v_add_u32_e32 v13, v20, v13
	v_add_u32_e32 v24, 8, v21
	v_sub_u32_e32 v23, v13, v22
	s_waitcnt lgkmcnt(1)
	v_mov_b32_e32 v13, v9
	v_mov_b32_e32 v14, v10
	v_cmp_gt_i32_e32 vcc, v24, v23
	s_mov_b64 s[2:3], 0
	s_and_saveexec_b64 s[4:5], vcc
	s_cbranch_execz .LBB37_40
; %bb.35:
	v_cmp_gt_i32_e32 vcc, 4, v22
	s_waitcnt lgkmcnt(0)
	v_cmp_nlt_f32_e64 s[0:1], v9, v11
	s_and_b64 s[6:7], vcc, s[0:1]
	s_mov_b64 s[2:3], -1
	s_and_saveexec_b64 s[0:1], s[6:7]
	s_cbranch_execz .LBB37_39
; %bb.36:
	v_cmp_eq_f32_e32 vcc, v9, v11
	s_mov_b64 s[2:3], 0
	s_and_saveexec_b64 s[6:7], vcc
; %bb.37:
	v_cmp_lt_f32_e32 vcc, v10, v12
	s_and_b64 s[2:3], vcc, exec
; %bb.38:
	s_or_b64 exec, exec, s[6:7]
	s_orn2_b64 s[2:3], s[2:3], exec
.LBB37_39:
	s_or_b64 exec, exec, s[0:1]
	s_and_b64 s[2:3], s[2:3], exec
.LBB37_40:
	s_or_b64 exec, exec, s[4:5]
	s_xor_b64 s[0:1], s[2:3], -1
                                        ; implicit-def: $vgpr15
	s_and_saveexec_b64 s[4:5], s[0:1]
	s_xor_b64 s[0:1], exec, s[4:5]
; %bb.41:
	ds_read_b64 v[15:16], v16 offset:8
                                        ; implicit-def: $vgpr25
; %bb.42:
	s_andn2_saveexec_b64 s[0:1], s[0:1]
	s_cbranch_execz .LBB37_44
; %bb.43:
	ds_read_b64 v[13:14], v25 offset:40
	s_waitcnt lgkmcnt(1)
	v_mov_b32_e32 v16, v12
	v_mov_b32_e32 v15, v11
.LBB37_44:
	s_or_b64 exec, exec, s[0:1]
	v_add_u32_e32 v21, v22, v21
	v_add_u32_e32 v22, 1, v23
	;; [unrolled: 1-line block ×3, first 2 shown]
	v_cndmask_b32_e64 v22, v23, v22, s[2:3]
	v_cndmask_b32_e64 v25, v25, v21, s[2:3]
	v_cmp_lt_i32_e32 vcc, v22, v24
	s_mov_b64 s[0:1], 0
	s_and_saveexec_b64 s[4:5], vcc
	s_cbranch_execz .LBB37_50
; %bb.45:
	v_cmp_lt_i32_e32 vcc, v25, v20
	s_waitcnt lgkmcnt(0)
	v_cmp_nlt_f32_e64 s[0:1], v13, v15
	s_and_b64 s[8:9], vcc, s[0:1]
	s_mov_b64 s[6:7], -1
	s_and_saveexec_b64 s[0:1], s[8:9]
	s_cbranch_execz .LBB37_49
; %bb.46:
	v_cmp_eq_f32_e32 vcc, v13, v15
	s_mov_b64 s[6:7], 0
	s_and_saveexec_b64 s[8:9], vcc
; %bb.47:
	v_cmp_lt_f32_e32 vcc, v14, v16
	s_and_b64 s[6:7], vcc, exec
; %bb.48:
	s_or_b64 exec, exec, s[8:9]
	s_orn2_b64 s[6:7], s[6:7], exec
.LBB37_49:
	s_or_b64 exec, exec, s[0:1]
	s_and_b64 s[0:1], s[6:7], exec
.LBB37_50:
	s_or_b64 exec, exec, s[4:5]
	s_waitcnt lgkmcnt(0)
	v_cndmask_b32_e64 v9, v11, v9, s[2:3]
	v_cndmask_b32_e64 v20, v21, v23, s[2:3]
	;; [unrolled: 1-line block ×4, first 2 shown]
	; wave barrier
	ds_write2_b64 v17, v[0:1], v[7:8] offset1:1
	v_lshl_add_u32 v0, v20, 3, v2
	v_lshl_add_u32 v7, v13, 3, v2
	; wave barrier
	ds_read_b64 v[0:1], v0
	ds_read_b64 v[7:8], v7
	v_and_b32_e32 v21, 48, v19
	v_cndmask_b32_e64 v10, v12, v10, s[2:3]
	v_cndmask_b32_e64 v12, v16, v14, s[0:1]
	v_or_b32_e32 v20, 8, v21
	; wave barrier
	ds_write2_b64 v17, v[9:10], v[11:12] offset1:1
	v_and_b32_e32 v13, 14, v19
	v_sub_u32_e32 v10, v20, v21
	v_sub_u32_e64 v22, v13, 8 clamp
	v_min_i32_e32 v10, v13, v10
	v_lshl_add_u32 v9, v21, 3, v2
	v_cmp_lt_i32_e32 vcc, v22, v10
	; wave barrier
	s_and_saveexec_b64 s[0:1], vcc
	s_cbranch_execz .LBB37_58
; %bb.51:
	v_lshl_add_u32 v11, v13, 3, v9
	s_mov_b64 s[2:3], 0
                                        ; implicit-def: $sgpr4_sgpr5
	s_branch .LBB37_54
.LBB37_52:                              ;   in Loop: Header=BB37_54 Depth=1
	s_or_b64 exec, exec, s[10:11]
	s_andn2_b64 s[4:5], s[4:5], exec
	s_and_b64 s[8:9], s[8:9], exec
	s_or_b64 s[4:5], s[4:5], s[8:9]
.LBB37_53:                              ;   in Loop: Header=BB37_54 Depth=1
	s_or_b64 exec, exec, s[6:7]
	v_add_u32_e32 v14, 1, v12
	v_cndmask_b32_e64 v10, v10, v12, s[4:5]
	v_cndmask_b32_e64 v22, v14, v22, s[4:5]
	v_cmp_ge_i32_e32 vcc, v22, v10
	s_or_b64 s[2:3], vcc, s[2:3]
	s_andn2_b64 exec, exec, s[2:3]
	s_cbranch_execz .LBB37_57
.LBB37_54:                              ; =>This Inner Loop Header: Depth=1
	v_sub_u32_e32 v12, v10, v22
	v_lshrrev_b32_e32 v12, 1, v12
	v_add_u32_e32 v12, v12, v22
	v_lshl_add_u32 v14, v12, 3, v9
	v_not_b32_e32 v15, v12
	v_lshl_add_u32 v15, v15, 3, v11
	ds_read_b32 v16, v14
	ds_read_b32 v23, v15 offset:64
	s_or_b64 s[4:5], s[4:5], exec
	s_waitcnt lgkmcnt(0)
	v_cmp_nlt_f32_e32 vcc, v23, v16
	s_and_saveexec_b64 s[6:7], vcc
	s_cbranch_execz .LBB37_53
; %bb.55:                               ;   in Loop: Header=BB37_54 Depth=1
	v_cmp_eq_f32_e32 vcc, v23, v16
	s_mov_b64 s[8:9], 0
	s_and_saveexec_b64 s[10:11], vcc
	s_cbranch_execz .LBB37_52
; %bb.56:                               ;   in Loop: Header=BB37_54 Depth=1
	ds_read_b32 v15, v15 offset:68
	ds_read_b32 v14, v14 offset:4
	s_waitcnt lgkmcnt(0)
	v_cmp_lt_f32_e32 vcc, v15, v14
	s_and_b64 s[8:9], vcc, exec
	s_branch .LBB37_52
.LBB37_57:
	s_or_b64 exec, exec, s[2:3]
.LBB37_58:
	s_or_b64 exec, exec, s[0:1]
	v_lshl_add_u32 v16, v22, 3, v9
	v_add_u32_e32 v9, v21, v13
	v_sub_u32_e32 v9, v9, v22
	v_lshl_add_u32 v25, v9, 3, v2
	ds_read_b64 v[9:10], v25 offset:64
	ds_read_b64 v[11:12], v16
	v_add_u32_e32 v13, v20, v13
	v_add_u32_e32 v24, 16, v21
	v_sub_u32_e32 v23, v13, v22
	s_waitcnt lgkmcnt(1)
	v_mov_b32_e32 v13, v9
	v_mov_b32_e32 v14, v10
	v_cmp_gt_i32_e32 vcc, v24, v23
	s_mov_b64 s[2:3], 0
	s_and_saveexec_b64 s[4:5], vcc
	s_cbranch_execz .LBB37_64
; %bb.59:
	v_cmp_gt_i32_e32 vcc, 8, v22
	s_waitcnt lgkmcnt(0)
	v_cmp_nlt_f32_e64 s[0:1], v9, v11
	s_and_b64 s[6:7], vcc, s[0:1]
	s_mov_b64 s[2:3], -1
	s_and_saveexec_b64 s[0:1], s[6:7]
	s_cbranch_execz .LBB37_63
; %bb.60:
	v_cmp_eq_f32_e32 vcc, v9, v11
	s_mov_b64 s[2:3], 0
	s_and_saveexec_b64 s[6:7], vcc
; %bb.61:
	v_cmp_lt_f32_e32 vcc, v10, v12
	s_and_b64 s[2:3], vcc, exec
; %bb.62:
	s_or_b64 exec, exec, s[6:7]
	s_orn2_b64 s[2:3], s[2:3], exec
.LBB37_63:
	s_or_b64 exec, exec, s[0:1]
	s_and_b64 s[2:3], s[2:3], exec
.LBB37_64:
	s_or_b64 exec, exec, s[4:5]
	s_xor_b64 s[0:1], s[2:3], -1
                                        ; implicit-def: $vgpr15
	s_and_saveexec_b64 s[4:5], s[0:1]
	s_xor_b64 s[0:1], exec, s[4:5]
; %bb.65:
	ds_read_b64 v[15:16], v16 offset:8
                                        ; implicit-def: $vgpr25
; %bb.66:
	s_andn2_saveexec_b64 s[0:1], s[0:1]
	s_cbranch_execz .LBB37_68
; %bb.67:
	ds_read_b64 v[13:14], v25 offset:72
	s_waitcnt lgkmcnt(1)
	v_mov_b32_e32 v16, v12
	v_mov_b32_e32 v15, v11
.LBB37_68:
	s_or_b64 exec, exec, s[0:1]
	v_add_u32_e32 v21, v22, v21
	v_add_u32_e32 v22, 1, v23
	;; [unrolled: 1-line block ×3, first 2 shown]
	v_cndmask_b32_e64 v22, v23, v22, s[2:3]
	v_cndmask_b32_e64 v25, v25, v21, s[2:3]
	v_cmp_lt_i32_e32 vcc, v22, v24
	s_mov_b64 s[0:1], 0
	s_and_saveexec_b64 s[4:5], vcc
	s_cbranch_execz .LBB37_74
; %bb.69:
	v_cmp_lt_i32_e32 vcc, v25, v20
	s_waitcnt lgkmcnt(0)
	v_cmp_nlt_f32_e64 s[0:1], v13, v15
	s_and_b64 s[8:9], vcc, s[0:1]
	s_mov_b64 s[6:7], -1
	s_and_saveexec_b64 s[0:1], s[8:9]
	s_cbranch_execz .LBB37_73
; %bb.70:
	v_cmp_eq_f32_e32 vcc, v13, v15
	s_mov_b64 s[6:7], 0
	s_and_saveexec_b64 s[8:9], vcc
; %bb.71:
	v_cmp_lt_f32_e32 vcc, v14, v16
	s_and_b64 s[6:7], vcc, exec
; %bb.72:
	s_or_b64 exec, exec, s[8:9]
	s_orn2_b64 s[6:7], s[6:7], exec
.LBB37_73:
	s_or_b64 exec, exec, s[0:1]
	s_and_b64 s[0:1], s[6:7], exec
.LBB37_74:
	s_or_b64 exec, exec, s[4:5]
	s_waitcnt lgkmcnt(0)
	v_cndmask_b32_e64 v9, v11, v9, s[2:3]
	v_cndmask_b32_e64 v20, v21, v23, s[2:3]
	;; [unrolled: 1-line block ×4, first 2 shown]
	; wave barrier
	ds_write2_b64 v17, v[0:1], v[7:8] offset1:1
	v_lshl_add_u32 v0, v20, 3, v2
	v_lshl_add_u32 v7, v13, 3, v2
	; wave barrier
	ds_read_b64 v[0:1], v0
	ds_read_b64 v[7:8], v7
	v_and_b32_e32 v20, 32, v19
	v_cndmask_b32_e64 v10, v12, v10, s[2:3]
	v_cndmask_b32_e64 v12, v16, v14, s[0:1]
	v_and_b32_e32 v13, 30, v19
	v_or_b32_e32 v19, 16, v20
	; wave barrier
	ds_write2_b64 v17, v[9:10], v[11:12] offset1:1
	v_sub_u32_e32 v10, v19, v20
	v_sub_u32_e64 v21, v13, 16 clamp
	v_min_i32_e32 v10, v13, v10
	v_lshl_add_u32 v9, v20, 3, v2
	v_cmp_lt_i32_e32 vcc, v21, v10
	; wave barrier
	s_and_saveexec_b64 s[0:1], vcc
	s_cbranch_execz .LBB37_82
; %bb.75:
	v_lshl_add_u32 v11, v13, 3, v9
	s_mov_b64 s[2:3], 0
                                        ; implicit-def: $sgpr4_sgpr5
	s_branch .LBB37_78
.LBB37_76:                              ;   in Loop: Header=BB37_78 Depth=1
	s_or_b64 exec, exec, s[10:11]
	s_andn2_b64 s[4:5], s[4:5], exec
	s_and_b64 s[8:9], s[8:9], exec
	s_or_b64 s[4:5], s[4:5], s[8:9]
.LBB37_77:                              ;   in Loop: Header=BB37_78 Depth=1
	s_or_b64 exec, exec, s[6:7]
	v_add_u32_e32 v14, 1, v12
	v_cndmask_b32_e64 v10, v10, v12, s[4:5]
	v_cndmask_b32_e64 v21, v14, v21, s[4:5]
	v_cmp_ge_i32_e32 vcc, v21, v10
	s_or_b64 s[2:3], vcc, s[2:3]
	s_andn2_b64 exec, exec, s[2:3]
	s_cbranch_execz .LBB37_81
.LBB37_78:                              ; =>This Inner Loop Header: Depth=1
	v_sub_u32_e32 v12, v10, v21
	v_lshrrev_b32_e32 v12, 1, v12
	v_add_u32_e32 v12, v12, v21
	v_lshl_add_u32 v14, v12, 3, v9
	v_not_b32_e32 v15, v12
	v_lshl_add_u32 v15, v15, 3, v11
	ds_read_b32 v16, v14
	ds_read_b32 v22, v15 offset:128
	s_or_b64 s[4:5], s[4:5], exec
	s_waitcnt lgkmcnt(0)
	v_cmp_nlt_f32_e32 vcc, v22, v16
	s_and_saveexec_b64 s[6:7], vcc
	s_cbranch_execz .LBB37_77
; %bb.79:                               ;   in Loop: Header=BB37_78 Depth=1
	v_cmp_eq_f32_e32 vcc, v22, v16
	s_mov_b64 s[8:9], 0
	s_and_saveexec_b64 s[10:11], vcc
	s_cbranch_execz .LBB37_76
; %bb.80:                               ;   in Loop: Header=BB37_78 Depth=1
	ds_read_b32 v15, v15 offset:132
	ds_read_b32 v14, v14 offset:4
	s_waitcnt lgkmcnt(0)
	v_cmp_lt_f32_e32 vcc, v15, v14
	s_and_b64 s[8:9], vcc, exec
	s_branch .LBB37_76
.LBB37_81:
	s_or_b64 exec, exec, s[2:3]
.LBB37_82:
	s_or_b64 exec, exec, s[0:1]
	v_lshl_add_u32 v16, v21, 3, v9
	v_add_u32_e32 v9, v20, v13
	v_sub_u32_e32 v9, v9, v21
	v_lshl_add_u32 v24, v9, 3, v2
	ds_read_b64 v[9:10], v24 offset:128
	ds_read_b64 v[11:12], v16
	v_add_u32_e32 v13, v19, v13
	v_add_u32_e32 v23, 32, v20
	v_sub_u32_e32 v22, v13, v21
	s_waitcnt lgkmcnt(1)
	v_mov_b32_e32 v13, v9
	v_mov_b32_e32 v14, v10
	v_cmp_gt_i32_e32 vcc, v23, v22
	s_mov_b64 s[2:3], 0
	s_and_saveexec_b64 s[4:5], vcc
	s_cbranch_execz .LBB37_88
; %bb.83:
	v_cmp_gt_i32_e32 vcc, 16, v21
	s_waitcnt lgkmcnt(0)
	v_cmp_nlt_f32_e64 s[0:1], v9, v11
	s_and_b64 s[6:7], vcc, s[0:1]
	s_mov_b64 s[2:3], -1
	s_and_saveexec_b64 s[0:1], s[6:7]
	s_cbranch_execz .LBB37_87
; %bb.84:
	v_cmp_eq_f32_e32 vcc, v9, v11
	s_mov_b64 s[2:3], 0
	s_and_saveexec_b64 s[6:7], vcc
; %bb.85:
	v_cmp_lt_f32_e32 vcc, v10, v12
	s_and_b64 s[2:3], vcc, exec
; %bb.86:
	s_or_b64 exec, exec, s[6:7]
	s_orn2_b64 s[2:3], s[2:3], exec
.LBB37_87:
	s_or_b64 exec, exec, s[0:1]
	s_and_b64 s[2:3], s[2:3], exec
.LBB37_88:
	s_or_b64 exec, exec, s[4:5]
	s_xor_b64 s[0:1], s[2:3], -1
                                        ; implicit-def: $vgpr15
	s_and_saveexec_b64 s[4:5], s[0:1]
	s_xor_b64 s[0:1], exec, s[4:5]
; %bb.89:
	ds_read_b64 v[15:16], v16 offset:8
                                        ; implicit-def: $vgpr24
; %bb.90:
	s_andn2_saveexec_b64 s[0:1], s[0:1]
	s_cbranch_execz .LBB37_92
; %bb.91:
	ds_read_b64 v[13:14], v24 offset:136
	s_waitcnt lgkmcnt(1)
	v_mov_b32_e32 v16, v12
	v_mov_b32_e32 v15, v11
.LBB37_92:
	s_or_b64 exec, exec, s[0:1]
	v_add_u32_e32 v20, v21, v20
	v_add_u32_e32 v21, 1, v22
	;; [unrolled: 1-line block ×3, first 2 shown]
	v_cndmask_b32_e64 v21, v22, v21, s[2:3]
	v_cndmask_b32_e64 v24, v24, v20, s[2:3]
	v_cmp_lt_i32_e32 vcc, v21, v23
	s_mov_b64 s[0:1], 0
	s_and_saveexec_b64 s[4:5], vcc
	s_cbranch_execz .LBB37_98
; %bb.93:
	v_cmp_lt_i32_e32 vcc, v24, v19
	s_waitcnt lgkmcnt(0)
	v_cmp_nlt_f32_e64 s[0:1], v13, v15
	s_and_b64 s[8:9], vcc, s[0:1]
	s_mov_b64 s[6:7], -1
	s_and_saveexec_b64 s[0:1], s[8:9]
	s_cbranch_execz .LBB37_97
; %bb.94:
	v_cmp_eq_f32_e32 vcc, v13, v15
	s_mov_b64 s[6:7], 0
	s_and_saveexec_b64 s[8:9], vcc
; %bb.95:
	v_cmp_lt_f32_e32 vcc, v14, v16
	s_and_b64 s[6:7], vcc, exec
; %bb.96:
	s_or_b64 exec, exec, s[8:9]
	s_orn2_b64 s[6:7], s[6:7], exec
.LBB37_97:
	s_or_b64 exec, exec, s[0:1]
	s_and_b64 s[0:1], s[6:7], exec
.LBB37_98:
	s_or_b64 exec, exec, s[4:5]
	s_waitcnt lgkmcnt(0)
	v_cndmask_b32_e64 v9, v11, v9, s[2:3]
	v_cndmask_b32_e64 v19, v20, v22, s[2:3]
	;; [unrolled: 1-line block ×4, first 2 shown]
	; wave barrier
	ds_write2_b64 v17, v[0:1], v[7:8] offset1:1
	v_lshl_add_u32 v0, v19, 3, v2
	v_lshl_add_u32 v7, v13, 3, v2
	; wave barrier
	ds_read_b64 v[0:1], v0
	ds_read_b64 v[7:8], v7
	v_cndmask_b32_e64 v10, v12, v10, s[2:3]
	v_cndmask_b32_e64 v12, v16, v14, s[0:1]
	; wave barrier
	ds_write2_b64 v17, v[9:10], v[11:12] offset1:1
	v_sub_u32_e64 v19, v18, 32 clamp
	v_min_i32_e32 v9, 32, v18
	v_cmp_lt_u32_e32 vcc, v19, v9
	; wave barrier
	s_and_saveexec_b64 s[0:1], vcc
	s_cbranch_execz .LBB37_106
; %bb.99:
	s_mov_b64 s[2:3], 0
                                        ; implicit-def: $sgpr4_sgpr5
	s_branch .LBB37_102
.LBB37_100:                             ;   in Loop: Header=BB37_102 Depth=1
	s_or_b64 exec, exec, s[10:11]
	s_andn2_b64 s[4:5], s[4:5], exec
	s_and_b64 s[8:9], s[8:9], exec
	s_or_b64 s[4:5], s[4:5], s[8:9]
.LBB37_101:                             ;   in Loop: Header=BB37_102 Depth=1
	s_or_b64 exec, exec, s[6:7]
	v_add_u32_e32 v11, 1, v10
	v_cndmask_b32_e64 v9, v9, v10, s[4:5]
	v_cndmask_b32_e64 v19, v11, v19, s[4:5]
	v_cmp_ge_i32_e32 vcc, v19, v9
	s_or_b64 s[2:3], vcc, s[2:3]
	s_andn2_b64 exec, exec, s[2:3]
	s_cbranch_execz .LBB37_105
.LBB37_102:                             ; =>This Inner Loop Header: Depth=1
	v_sub_u32_e32 v10, v9, v19
	v_lshrrev_b32_e32 v10, 1, v10
	v_add_u32_e32 v10, v10, v19
	v_lshl_add_u32 v11, v10, 3, v2
	v_not_b32_e32 v12, v10
	v_lshl_add_u32 v12, v12, 3, v17
	ds_read_b32 v13, v11
	ds_read_b32 v14, v12 offset:256
	s_or_b64 s[4:5], s[4:5], exec
	s_waitcnt lgkmcnt(0)
	v_cmp_nlt_f32_e32 vcc, v14, v13
	s_and_saveexec_b64 s[6:7], vcc
	s_cbranch_execz .LBB37_101
; %bb.103:                              ;   in Loop: Header=BB37_102 Depth=1
	v_cmp_eq_f32_e32 vcc, v14, v13
	s_mov_b64 s[8:9], 0
	s_and_saveexec_b64 s[10:11], vcc
	s_cbranch_execz .LBB37_100
; %bb.104:                              ;   in Loop: Header=BB37_102 Depth=1
	ds_read_b32 v12, v12 offset:260
	ds_read_b32 v11, v11 offset:4
	s_waitcnt lgkmcnt(0)
	v_cmp_lt_f32_e32 vcc, v12, v11
	s_and_b64 s[8:9], vcc, exec
	s_branch .LBB37_100
.LBB37_105:
	s_or_b64 exec, exec, s[2:3]
.LBB37_106:
	s_or_b64 exec, exec, s[0:1]
	v_sub_u32_e32 v13, v18, v19
	v_lshl_add_u32 v20, v13, 3, v2
	ds_read_b64 v[9:10], v20 offset:256
	v_lshl_add_u32 v16, v19, 3, v2
	ds_read_b64 v[11:12], v16
	v_add_u32_e32 v18, 32, v13
	v_cmp_gt_i32_e32 vcc, 64, v18
	s_waitcnt lgkmcnt(1)
	v_mov_b32_e32 v13, v9
	v_mov_b32_e32 v14, v10
	s_mov_b64 s[2:3], 0
	s_and_saveexec_b64 s[4:5], vcc
	s_cbranch_execz .LBB37_112
; %bb.107:
	v_cmp_gt_i32_e32 vcc, 32, v19
	s_waitcnt lgkmcnt(0)
	v_cmp_nlt_f32_e64 s[0:1], v9, v11
	s_and_b64 s[6:7], vcc, s[0:1]
	s_mov_b64 s[2:3], -1
	s_and_saveexec_b64 s[0:1], s[6:7]
	s_cbranch_execz .LBB37_111
; %bb.108:
	v_cmp_eq_f32_e32 vcc, v9, v11
	s_mov_b64 s[2:3], 0
	s_and_saveexec_b64 s[6:7], vcc
; %bb.109:
	v_cmp_lt_f32_e32 vcc, v10, v12
	s_and_b64 s[2:3], vcc, exec
; %bb.110:
	s_or_b64 exec, exec, s[6:7]
	s_orn2_b64 s[2:3], s[2:3], exec
.LBB37_111:
	s_or_b64 exec, exec, s[0:1]
	s_and_b64 s[2:3], s[2:3], exec
.LBB37_112:
	s_or_b64 exec, exec, s[4:5]
	s_xor_b64 s[0:1], s[2:3], -1
                                        ; implicit-def: $vgpr15
	s_and_saveexec_b64 s[4:5], s[0:1]
	s_xor_b64 s[0:1], exec, s[4:5]
; %bb.113:
	ds_read_b64 v[15:16], v16 offset:8
                                        ; implicit-def: $vgpr20
; %bb.114:
	s_andn2_saveexec_b64 s[0:1], s[0:1]
	s_cbranch_execz .LBB37_116
; %bb.115:
	ds_read_b64 v[13:14], v20 offset:264
	s_waitcnt lgkmcnt(1)
	v_mov_b32_e32 v16, v12
	v_mov_b32_e32 v15, v11
.LBB37_116:
	s_or_b64 exec, exec, s[0:1]
	v_add_u32_e32 v20, 1, v18
	v_add_u32_e32 v21, 1, v19
	v_cndmask_b32_e64 v20, v18, v20, s[2:3]
	v_cndmask_b32_e64 v21, v21, v19, s[2:3]
	v_cmp_gt_i32_e32 vcc, 64, v20
	s_mov_b64 s[0:1], 0
	s_and_saveexec_b64 s[4:5], vcc
	s_cbranch_execz .LBB37_122
; %bb.117:
	v_cmp_gt_i32_e32 vcc, 32, v21
	s_waitcnt lgkmcnt(0)
	v_cmp_nlt_f32_e64 s[0:1], v13, v15
	s_and_b64 s[8:9], vcc, s[0:1]
	s_mov_b64 s[6:7], -1
	s_and_saveexec_b64 s[0:1], s[8:9]
	s_cbranch_execz .LBB37_121
; %bb.118:
	v_cmp_eq_f32_e32 vcc, v13, v15
	s_mov_b64 s[6:7], 0
	s_and_saveexec_b64 s[8:9], vcc
; %bb.119:
	v_cmp_lt_f32_e32 vcc, v14, v16
	s_and_b64 s[6:7], vcc, exec
; %bb.120:
	s_or_b64 exec, exec, s[8:9]
	s_orn2_b64 s[6:7], s[6:7], exec
.LBB37_121:
	s_or_b64 exec, exec, s[0:1]
	s_and_b64 s[0:1], s[6:7], exec
.LBB37_122:
	s_or_b64 exec, exec, s[4:5]
	v_cndmask_b32_e64 v18, v19, v18, s[2:3]
	v_cndmask_b32_e64 v19, v21, v20, s[0:1]
	; wave barrier
	ds_write2_b64 v17, v[0:1], v[7:8] offset1:1
	v_lshl_add_u32 v0, v18, 3, v2
	; wave barrier
	v_lshl_add_u32 v1, v19, 3, v2
	ds_read_b64 v[17:18], v0
	ds_read_b64 v[19:20], v1
	s_waitcnt lgkmcnt(3)
	v_cndmask_b32_e64 v10, v12, v10, s[2:3]
	v_cndmask_b32_e64 v9, v11, v9, s[2:3]
	;; [unrolled: 1-line block ×4, first 2 shown]
	global_store_dwordx4 v[5:6], v[9:12], off
	s_waitcnt lgkmcnt(0)
	global_store_dwordx4 v[3:4], v[17:20], off
	s_endpgm
	.section	.rodata,"a",@progbits
	.p2align	6, 0x0
	.amdhsa_kernel _Z21sort_keys_values_fullILj256ELj32ELj2ELb0EN10test_utils16custom_test_typeIfEEyNS0_4lessEEvPT3_PT4_T5_
		.amdhsa_group_segment_fixed_size 4160
		.amdhsa_private_segment_fixed_size 0
		.amdhsa_kernarg_size 20
		.amdhsa_user_sgpr_count 6
		.amdhsa_user_sgpr_private_segment_buffer 1
		.amdhsa_user_sgpr_dispatch_ptr 0
		.amdhsa_user_sgpr_queue_ptr 0
		.amdhsa_user_sgpr_kernarg_segment_ptr 1
		.amdhsa_user_sgpr_dispatch_id 0
		.amdhsa_user_sgpr_flat_scratch_init 0
		.amdhsa_user_sgpr_private_segment_size 0
		.amdhsa_uses_dynamic_stack 0
		.amdhsa_system_sgpr_private_segment_wavefront_offset 0
		.amdhsa_system_sgpr_workgroup_id_x 1
		.amdhsa_system_sgpr_workgroup_id_y 0
		.amdhsa_system_sgpr_workgroup_id_z 0
		.amdhsa_system_sgpr_workgroup_info 0
		.amdhsa_system_vgpr_workitem_id 0
		.amdhsa_next_free_vgpr 26
		.amdhsa_next_free_sgpr 12
		.amdhsa_reserve_vcc 1
		.amdhsa_reserve_flat_scratch 0
		.amdhsa_float_round_mode_32 0
		.amdhsa_float_round_mode_16_64 0
		.amdhsa_float_denorm_mode_32 3
		.amdhsa_float_denorm_mode_16_64 3
		.amdhsa_dx10_clamp 1
		.amdhsa_ieee_mode 1
		.amdhsa_fp16_overflow 0
		.amdhsa_exception_fp_ieee_invalid_op 0
		.amdhsa_exception_fp_denorm_src 0
		.amdhsa_exception_fp_ieee_div_zero 0
		.amdhsa_exception_fp_ieee_overflow 0
		.amdhsa_exception_fp_ieee_underflow 0
		.amdhsa_exception_fp_ieee_inexact 0
		.amdhsa_exception_int_div_zero 0
	.end_amdhsa_kernel
	.section	.text._Z21sort_keys_values_fullILj256ELj32ELj2ELb0EN10test_utils16custom_test_typeIfEEyNS0_4lessEEvPT3_PT4_T5_,"axG",@progbits,_Z21sort_keys_values_fullILj256ELj32ELj2ELb0EN10test_utils16custom_test_typeIfEEyNS0_4lessEEvPT3_PT4_T5_,comdat
.Lfunc_end37:
	.size	_Z21sort_keys_values_fullILj256ELj32ELj2ELb0EN10test_utils16custom_test_typeIfEEyNS0_4lessEEvPT3_PT4_T5_, .Lfunc_end37-_Z21sort_keys_values_fullILj256ELj32ELj2ELb0EN10test_utils16custom_test_typeIfEEyNS0_4lessEEvPT3_PT4_T5_
                                        ; -- End function
	.set _Z21sort_keys_values_fullILj256ELj32ELj2ELb0EN10test_utils16custom_test_typeIfEEyNS0_4lessEEvPT3_PT4_T5_.num_vgpr, 26
	.set _Z21sort_keys_values_fullILj256ELj32ELj2ELb0EN10test_utils16custom_test_typeIfEEyNS0_4lessEEvPT3_PT4_T5_.num_agpr, 0
	.set _Z21sort_keys_values_fullILj256ELj32ELj2ELb0EN10test_utils16custom_test_typeIfEEyNS0_4lessEEvPT3_PT4_T5_.numbered_sgpr, 12
	.set _Z21sort_keys_values_fullILj256ELj32ELj2ELb0EN10test_utils16custom_test_typeIfEEyNS0_4lessEEvPT3_PT4_T5_.num_named_barrier, 0
	.set _Z21sort_keys_values_fullILj256ELj32ELj2ELb0EN10test_utils16custom_test_typeIfEEyNS0_4lessEEvPT3_PT4_T5_.private_seg_size, 0
	.set _Z21sort_keys_values_fullILj256ELj32ELj2ELb0EN10test_utils16custom_test_typeIfEEyNS0_4lessEEvPT3_PT4_T5_.uses_vcc, 1
	.set _Z21sort_keys_values_fullILj256ELj32ELj2ELb0EN10test_utils16custom_test_typeIfEEyNS0_4lessEEvPT3_PT4_T5_.uses_flat_scratch, 0
	.set _Z21sort_keys_values_fullILj256ELj32ELj2ELb0EN10test_utils16custom_test_typeIfEEyNS0_4lessEEvPT3_PT4_T5_.has_dyn_sized_stack, 0
	.set _Z21sort_keys_values_fullILj256ELj32ELj2ELb0EN10test_utils16custom_test_typeIfEEyNS0_4lessEEvPT3_PT4_T5_.has_recursion, 0
	.set _Z21sort_keys_values_fullILj256ELj32ELj2ELb0EN10test_utils16custom_test_typeIfEEyNS0_4lessEEvPT3_PT4_T5_.has_indirect_call, 0
	.section	.AMDGPU.csdata,"",@progbits
; Kernel info:
; codeLenInByte = 3536
; TotalNumSgprs: 16
; NumVgprs: 26
; ScratchSize: 0
; MemoryBound: 0
; FloatMode: 240
; IeeeMode: 1
; LDSByteSize: 4160 bytes/workgroup (compile time only)
; SGPRBlocks: 1
; VGPRBlocks: 6
; NumSGPRsForWavesPerEU: 16
; NumVGPRsForWavesPerEU: 26
; Occupancy: 9
; WaveLimiterHint : 0
; COMPUTE_PGM_RSRC2:SCRATCH_EN: 0
; COMPUTE_PGM_RSRC2:USER_SGPR: 6
; COMPUTE_PGM_RSRC2:TRAP_HANDLER: 0
; COMPUTE_PGM_RSRC2:TGID_X_EN: 1
; COMPUTE_PGM_RSRC2:TGID_Y_EN: 0
; COMPUTE_PGM_RSRC2:TGID_Z_EN: 0
; COMPUTE_PGM_RSRC2:TIDIG_COMP_CNT: 0
	.section	.text._Z21sort_keys_values_fullILj32ELj32ELj1ELb0E12hip_bfloat16iN10test_utils4lessEEvPT3_PT4_T5_,"axG",@progbits,_Z21sort_keys_values_fullILj32ELj32ELj1ELb0E12hip_bfloat16iN10test_utils4lessEEvPT3_PT4_T5_,comdat
	.protected	_Z21sort_keys_values_fullILj32ELj32ELj1ELb0E12hip_bfloat16iN10test_utils4lessEEvPT3_PT4_T5_ ; -- Begin function _Z21sort_keys_values_fullILj32ELj32ELj1ELb0E12hip_bfloat16iN10test_utils4lessEEvPT3_PT4_T5_
	.globl	_Z21sort_keys_values_fullILj32ELj32ELj1ELb0E12hip_bfloat16iN10test_utils4lessEEvPT3_PT4_T5_
	.p2align	8
	.type	_Z21sort_keys_values_fullILj32ELj32ELj1ELb0E12hip_bfloat16iN10test_utils4lessEEvPT3_PT4_T5_,@function
_Z21sort_keys_values_fullILj32ELj32ELj1ELb0E12hip_bfloat16iN10test_utils4lessEEvPT3_PT4_T5_: ; @_Z21sort_keys_values_fullILj32ELj32ELj1ELb0E12hip_bfloat16iN10test_utils4lessEEvPT3_PT4_T5_
; %bb.0:
	s_load_dwordx4 s[0:3], s[4:5], 0x0
	s_lshl_b32 s4, s6, 5
	s_mov_b32 s5, 0
	s_lshl_b64 s[6:7], s[4:5], 1
	v_lshlrev_b32_e32 v1, 1, v0
	s_waitcnt lgkmcnt(0)
	s_add_u32 s0, s0, s6
	s_addc_u32 s1, s1, s7
	s_lshl_b64 s[4:5], s[4:5], 2
	global_load_ushort v13, v1, s[0:1]
	s_add_u32 s2, s2, s4
	s_addc_u32 s3, s3, s5
	v_lshlrev_b32_e32 v2, 2, v0
	global_load_dword v8, v2, s[2:3]
	v_mbcnt_lo_u32_b32 v0, -1, 0
	v_mbcnt_hi_u32_b32 v7, -1, v0
	v_and_b32_e32 v10, 30, v7
	v_mov_b32_e32 v3, s1
	v_add_co_u32_e32 v0, vcc, s0, v1
	v_and_b32_e32 v4, 31, v7
	v_or_b32_e32 v9, 1, v10
	v_addc_co_u32_e32 v1, vcc, 0, v3, vcc
	v_and_b32_e32 v11, 1, v7
	v_lshlrev_b32_e32 v5, 1, v4
	v_sub_u32_e32 v14, v9, v10
	v_mov_b32_e32 v3, s3
	v_add_co_u32_e32 v2, vcc, s2, v2
	; wave barrier
	v_addc_co_u32_e32 v3, vcc, 0, v3, vcc
	v_mov_b32_e32 v6, 0
	v_lshlrev_b32_e32 v12, 1, v10
	s_waitcnt vmcnt(1)
	ds_write_b16 v5, v13
	v_min_i32_e32 v13, v11, v14
	v_cmp_lt_i32_e32 vcc, 0, v13
	; wave barrier
	s_and_saveexec_b64 s[0:1], vcc
	s_cbranch_execz .LBB38_4
; %bb.1:
	v_mov_b32_e32 v13, 1
	v_lshl_add_u32 v14, v11, 1, v12
	s_mov_b64 s[2:3], 0
.LBB38_2:                               ; =>This Inner Loop Header: Depth=1
	v_sub_u32_e32 v15, v13, v6
	v_lshrrev_b32_e32 v15, 1, v15
	v_add_u32_e32 v15, v15, v6
	v_not_b32_e32 v17, v15
	v_lshl_add_u32 v16, v15, 1, v12
	v_lshl_add_u32 v17, v17, 1, v14
	ds_read_u16 v16, v16
	ds_read_u16 v17, v17 offset:2
	v_add_u32_e32 v18, 1, v15
	s_waitcnt lgkmcnt(1)
	v_lshlrev_b32_e32 v16, 16, v16
	s_waitcnt lgkmcnt(0)
	v_lshlrev_b32_e32 v17, 16, v17
	v_cmp_lt_f32_e32 vcc, v17, v16
	v_cndmask_b32_e32 v13, v13, v15, vcc
	v_cndmask_b32_e32 v6, v18, v6, vcc
	v_cmp_ge_i32_e32 vcc, v6, v13
	s_or_b64 s[2:3], vcc, s[2:3]
	s_andn2_b64 exec, exec, s[2:3]
	s_cbranch_execnz .LBB38_2
; %bb.3:
	s_or_b64 exec, exec, s[2:3]
.LBB38_4:
	s_or_b64 exec, exec, s[0:1]
	v_add_u32_e32 v13, v6, v10
	v_add_u32_e32 v10, v10, v11
	v_sub_u32_e32 v10, v10, v6
	v_lshl_add_u32 v12, v6, 1, v12
	v_lshlrev_b32_e32 v10, 1, v10
	v_add_u32_e32 v14, v9, v11
	ds_read_u16 v11, v12
	ds_read_u16 v10, v10 offset:2
	v_sub_u32_e32 v12, v14, v6
	v_cmp_ge_i32_e32 vcc, v9, v12
	v_cmp_lt_i32_e64 s[0:1], 0, v6
	s_waitcnt lgkmcnt(1)
	v_lshlrev_b32_e32 v6, 16, v11
	s_waitcnt lgkmcnt(0)
	v_lshlrev_b32_e32 v9, 16, v10
	v_cmp_lt_f32_e64 s[2:3], v9, v6
	s_or_b64 s[0:1], s[0:1], s[2:3]
	s_and_b64 vcc, vcc, s[0:1]
	v_cndmask_b32_e32 v9, v11, v10, vcc
	v_cndmask_b32_e32 v10, v13, v12, vcc
	v_add_u32_e32 v6, v5, v5
	; wave barrier
	s_waitcnt vmcnt(0)
	ds_write_b32 v6, v8
	v_lshlrev_b32_e32 v8, 2, v10
	; wave barrier
	ds_read_b32 v8, v8
	v_and_b32_e32 v10, 28, v7
	v_or_b32_e32 v12, 2, v10
	v_and_b32_e32 v11, 3, v7
	v_sub_u32_e32 v14, v12, v10
	; wave barrier
	ds_write_b16 v5, v9
	v_sub_u32_e64 v9, v11, 2 clamp
	v_min_i32_e32 v14, v11, v14
	v_lshlrev_b32_e32 v13, 1, v10
	v_cmp_lt_i32_e32 vcc, v9, v14
	; wave barrier
	s_and_saveexec_b64 s[0:1], vcc
	s_cbranch_execz .LBB38_8
; %bb.5:
	v_lshl_add_u32 v15, v11, 1, v13
	s_mov_b64 s[2:3], 0
.LBB38_6:                               ; =>This Inner Loop Header: Depth=1
	v_sub_u32_e32 v16, v14, v9
	v_lshrrev_b32_e32 v16, 1, v16
	v_add_u32_e32 v16, v16, v9
	v_not_b32_e32 v18, v16
	v_lshl_add_u32 v17, v16, 1, v13
	v_lshl_add_u32 v18, v18, 1, v15
	ds_read_u16 v17, v17
	ds_read_u16 v18, v18 offset:4
	v_add_u32_e32 v19, 1, v16
	s_waitcnt lgkmcnt(1)
	v_lshlrev_b32_e32 v17, 16, v17
	s_waitcnt lgkmcnt(0)
	v_lshlrev_b32_e32 v18, 16, v18
	v_cmp_lt_f32_e32 vcc, v18, v17
	v_cndmask_b32_e32 v14, v14, v16, vcc
	v_cndmask_b32_e32 v9, v19, v9, vcc
	v_cmp_ge_i32_e32 vcc, v9, v14
	s_or_b64 s[2:3], vcc, s[2:3]
	s_andn2_b64 exec, exec, s[2:3]
	s_cbranch_execnz .LBB38_6
; %bb.7:
	s_or_b64 exec, exec, s[2:3]
.LBB38_8:
	s_or_b64 exec, exec, s[0:1]
	v_add_u32_e32 v14, 4, v10
	v_add_u32_e32 v15, v9, v10
	;; [unrolled: 1-line block ×3, first 2 shown]
	v_sub_u32_e32 v10, v10, v9
	v_lshl_add_u32 v13, v9, 1, v13
	v_lshlrev_b32_e32 v10, 1, v10
	v_add_u32_e32 v12, v12, v11
	ds_read_u16 v11, v13
	ds_read_u16 v10, v10 offset:4
	v_sub_u32_e32 v12, v12, v9
	v_cmp_lt_i32_e64 s[0:1], 1, v9
	v_cmp_gt_i32_e32 vcc, v14, v12
	s_waitcnt lgkmcnt(1)
	v_lshlrev_b32_e32 v9, 16, v11
	s_waitcnt lgkmcnt(0)
	v_lshlrev_b32_e32 v13, 16, v10
	v_cmp_lt_f32_e64 s[2:3], v13, v9
	s_or_b64 s[0:1], s[0:1], s[2:3]
	s_and_b64 vcc, vcc, s[0:1]
	v_cndmask_b32_e32 v9, v11, v10, vcc
	v_cndmask_b32_e32 v10, v15, v12, vcc
	; wave barrier
	ds_write_b32 v6, v8
	v_lshlrev_b32_e32 v8, 2, v10
	; wave barrier
	ds_read_b32 v8, v8
	v_and_b32_e32 v10, 24, v7
	v_or_b32_e32 v12, 4, v10
	v_and_b32_e32 v11, 7, v7
	v_sub_u32_e32 v14, v12, v10
	; wave barrier
	ds_write_b16 v5, v9
	v_sub_u32_e64 v9, v11, 4 clamp
	v_min_i32_e32 v14, v11, v14
	v_lshlrev_b32_e32 v13, 1, v10
	v_cmp_lt_i32_e32 vcc, v9, v14
	; wave barrier
	s_and_saveexec_b64 s[0:1], vcc
	s_cbranch_execz .LBB38_12
; %bb.9:
	v_lshl_add_u32 v15, v11, 1, v13
	s_mov_b64 s[2:3], 0
.LBB38_10:                              ; =>This Inner Loop Header: Depth=1
	v_sub_u32_e32 v16, v14, v9
	v_lshrrev_b32_e32 v16, 1, v16
	v_add_u32_e32 v16, v16, v9
	v_not_b32_e32 v18, v16
	v_lshl_add_u32 v17, v16, 1, v13
	v_lshl_add_u32 v18, v18, 1, v15
	ds_read_u16 v17, v17
	ds_read_u16 v18, v18 offset:8
	v_add_u32_e32 v19, 1, v16
	s_waitcnt lgkmcnt(1)
	v_lshlrev_b32_e32 v17, 16, v17
	s_waitcnt lgkmcnt(0)
	v_lshlrev_b32_e32 v18, 16, v18
	v_cmp_lt_f32_e32 vcc, v18, v17
	v_cndmask_b32_e32 v14, v14, v16, vcc
	v_cndmask_b32_e32 v9, v19, v9, vcc
	v_cmp_ge_i32_e32 vcc, v9, v14
	s_or_b64 s[2:3], vcc, s[2:3]
	s_andn2_b64 exec, exec, s[2:3]
	s_cbranch_execnz .LBB38_10
; %bb.11:
	s_or_b64 exec, exec, s[2:3]
.LBB38_12:
	s_or_b64 exec, exec, s[0:1]
	v_add_u32_e32 v14, 8, v10
	v_add_u32_e32 v15, v9, v10
	;; [unrolled: 1-line block ×3, first 2 shown]
	v_sub_u32_e32 v10, v10, v9
	v_lshl_add_u32 v13, v9, 1, v13
	v_lshlrev_b32_e32 v10, 1, v10
	v_add_u32_e32 v12, v12, v11
	ds_read_u16 v11, v13
	ds_read_u16 v10, v10 offset:8
	v_sub_u32_e32 v12, v12, v9
	v_cmp_lt_i32_e64 s[0:1], 3, v9
	v_cmp_gt_i32_e32 vcc, v14, v12
	s_waitcnt lgkmcnt(1)
	v_lshlrev_b32_e32 v9, 16, v11
	s_waitcnt lgkmcnt(0)
	v_lshlrev_b32_e32 v13, 16, v10
	v_cmp_lt_f32_e64 s[2:3], v13, v9
	s_or_b64 s[0:1], s[0:1], s[2:3]
	s_and_b64 vcc, vcc, s[0:1]
	v_cndmask_b32_e32 v9, v11, v10, vcc
	v_cndmask_b32_e32 v10, v15, v12, vcc
	; wave barrier
	ds_write_b32 v6, v8
	v_lshlrev_b32_e32 v8, 2, v10
	; wave barrier
	ds_read_b32 v8, v8
	; wave barrier
	ds_write_b16 v5, v9
	v_and_b32_e32 v9, 16, v7
	v_or_b32_e32 v11, 8, v9
	v_and_b32_e32 v10, 15, v7
	v_sub_u32_e32 v13, v11, v9
	v_sub_u32_e64 v7, v10, 8 clamp
	v_min_i32_e32 v13, v10, v13
	v_lshlrev_b32_e32 v12, 1, v9
	v_cmp_lt_i32_e32 vcc, v7, v13
	; wave barrier
	s_and_saveexec_b64 s[0:1], vcc
	s_cbranch_execz .LBB38_16
; %bb.13:
	v_lshl_add_u32 v14, v10, 1, v12
	s_mov_b64 s[2:3], 0
.LBB38_14:                              ; =>This Inner Loop Header: Depth=1
	v_sub_u32_e32 v15, v13, v7
	v_lshrrev_b32_e32 v15, 1, v15
	v_add_u32_e32 v15, v15, v7
	v_not_b32_e32 v17, v15
	v_lshl_add_u32 v16, v15, 1, v12
	v_lshl_add_u32 v17, v17, 1, v14
	ds_read_u16 v16, v16
	ds_read_u16 v17, v17 offset:16
	v_add_u32_e32 v18, 1, v15
	s_waitcnt lgkmcnt(1)
	v_lshlrev_b32_e32 v16, 16, v16
	s_waitcnt lgkmcnt(0)
	v_lshlrev_b32_e32 v17, 16, v17
	v_cmp_lt_f32_e32 vcc, v17, v16
	v_cndmask_b32_e32 v13, v13, v15, vcc
	v_cndmask_b32_e32 v7, v18, v7, vcc
	v_cmp_ge_i32_e32 vcc, v7, v13
	s_or_b64 s[2:3], vcc, s[2:3]
	s_andn2_b64 exec, exec, s[2:3]
	s_cbranch_execnz .LBB38_14
; %bb.15:
	s_or_b64 exec, exec, s[2:3]
.LBB38_16:
	s_or_b64 exec, exec, s[0:1]
	v_add_u32_e32 v13, 16, v9
	v_add_u32_e32 v14, v7, v9
	;; [unrolled: 1-line block ×3, first 2 shown]
	v_sub_u32_e32 v9, v9, v7
	v_lshl_add_u32 v12, v7, 1, v12
	v_lshlrev_b32_e32 v9, 1, v9
	v_add_u32_e32 v11, v11, v10
	ds_read_u16 v10, v12
	ds_read_u16 v9, v9 offset:16
	v_sub_u32_e32 v11, v11, v7
	v_cmp_lt_i32_e64 s[0:1], 7, v7
	v_cmp_gt_i32_e32 vcc, v13, v11
	s_waitcnt lgkmcnt(1)
	v_lshlrev_b32_e32 v7, 16, v10
	s_waitcnt lgkmcnt(0)
	v_lshlrev_b32_e32 v12, 16, v9
	v_cmp_lt_f32_e64 s[2:3], v12, v7
	s_or_b64 s[0:1], s[0:1], s[2:3]
	s_and_b64 vcc, vcc, s[0:1]
	v_cndmask_b32_e32 v7, v14, v11, vcc
	v_lshlrev_b32_e32 v7, 2, v7
	; wave barrier
	ds_write_b32 v6, v8
	; wave barrier
	ds_read_b32 v7, v7
	v_cndmask_b32_e32 v9, v10, v9, vcc
	; wave barrier
	ds_write_b16 v5, v9
	v_sub_u32_e64 v8, v4, 16 clamp
	v_min_u32_e32 v9, 16, v4
	v_cmp_lt_u32_e32 vcc, v8, v9
	; wave barrier
	s_and_saveexec_b64 s[0:1], vcc
	s_cbranch_execz .LBB38_20
; %bb.17:
	s_mov_b64 s[2:3], 0
.LBB38_18:                              ; =>This Inner Loop Header: Depth=1
	v_sub_u32_e32 v10, v9, v8
	v_lshrrev_b32_e32 v10, 1, v10
	v_add_u32_e32 v10, v10, v8
	v_not_b32_e32 v12, v10
	v_lshlrev_b32_e32 v11, 1, v10
	v_lshl_add_u32 v12, v12, 1, v5
	ds_read_u16 v11, v11
	ds_read_u16 v12, v12 offset:32
	v_add_u32_e32 v13, 1, v10
	s_waitcnt lgkmcnt(1)
	v_lshlrev_b32_e32 v11, 16, v11
	s_waitcnt lgkmcnt(0)
	v_lshlrev_b32_e32 v12, 16, v12
	v_cmp_lt_f32_e32 vcc, v12, v11
	v_cndmask_b32_e32 v9, v9, v10, vcc
	v_cndmask_b32_e32 v8, v13, v8, vcc
	v_cmp_ge_i32_e32 vcc, v8, v9
	s_or_b64 s[2:3], vcc, s[2:3]
	s_andn2_b64 exec, exec, s[2:3]
	s_cbranch_execnz .LBB38_18
; %bb.19:
	s_or_b64 exec, exec, s[2:3]
.LBB38_20:
	s_or_b64 exec, exec, s[0:1]
	v_sub_u32_e32 v4, v4, v8
	v_lshlrev_b32_e32 v5, 1, v8
	v_lshlrev_b32_e32 v9, 1, v4
	ds_read_u16 v5, v5
	ds_read_u16 v9, v9 offset:32
	v_add_u32_e32 v4, 16, v4
	v_cmp_lt_i32_e64 s[0:1], 15, v8
	v_cmp_gt_i32_e32 vcc, 32, v4
	s_waitcnt lgkmcnt(1)
	v_lshlrev_b32_e32 v10, 16, v5
	s_waitcnt lgkmcnt(0)
	v_lshlrev_b32_e32 v11, 16, v9
	v_cmp_lt_f32_e64 s[2:3], v11, v10
	s_or_b64 s[0:1], s[0:1], s[2:3]
	s_and_b64 vcc, vcc, s[0:1]
	v_cndmask_b32_e32 v4, v8, v4, vcc
	v_lshlrev_b32_e32 v4, 2, v4
	; wave barrier
	ds_write_b32 v6, v7
	; wave barrier
	ds_read_b32 v4, v4
	v_cndmask_b32_e32 v5, v5, v9, vcc
	global_store_short v[0:1], v5, off
	s_waitcnt lgkmcnt(0)
	global_store_dword v[2:3], v4, off
	s_endpgm
	.section	.rodata,"a",@progbits
	.p2align	6, 0x0
	.amdhsa_kernel _Z21sort_keys_values_fullILj32ELj32ELj1ELb0E12hip_bfloat16iN10test_utils4lessEEvPT3_PT4_T5_
		.amdhsa_group_segment_fixed_size 132
		.amdhsa_private_segment_fixed_size 0
		.amdhsa_kernarg_size 20
		.amdhsa_user_sgpr_count 6
		.amdhsa_user_sgpr_private_segment_buffer 1
		.amdhsa_user_sgpr_dispatch_ptr 0
		.amdhsa_user_sgpr_queue_ptr 0
		.amdhsa_user_sgpr_kernarg_segment_ptr 1
		.amdhsa_user_sgpr_dispatch_id 0
		.amdhsa_user_sgpr_flat_scratch_init 0
		.amdhsa_user_sgpr_private_segment_size 0
		.amdhsa_uses_dynamic_stack 0
		.amdhsa_system_sgpr_private_segment_wavefront_offset 0
		.amdhsa_system_sgpr_workgroup_id_x 1
		.amdhsa_system_sgpr_workgroup_id_y 0
		.amdhsa_system_sgpr_workgroup_id_z 0
		.amdhsa_system_sgpr_workgroup_info 0
		.amdhsa_system_vgpr_workitem_id 0
		.amdhsa_next_free_vgpr 20
		.amdhsa_next_free_sgpr 8
		.amdhsa_reserve_vcc 1
		.amdhsa_reserve_flat_scratch 0
		.amdhsa_float_round_mode_32 0
		.amdhsa_float_round_mode_16_64 0
		.amdhsa_float_denorm_mode_32 3
		.amdhsa_float_denorm_mode_16_64 3
		.amdhsa_dx10_clamp 1
		.amdhsa_ieee_mode 1
		.amdhsa_fp16_overflow 0
		.amdhsa_exception_fp_ieee_invalid_op 0
		.amdhsa_exception_fp_denorm_src 0
		.amdhsa_exception_fp_ieee_div_zero 0
		.amdhsa_exception_fp_ieee_overflow 0
		.amdhsa_exception_fp_ieee_underflow 0
		.amdhsa_exception_fp_ieee_inexact 0
		.amdhsa_exception_int_div_zero 0
	.end_amdhsa_kernel
	.section	.text._Z21sort_keys_values_fullILj32ELj32ELj1ELb0E12hip_bfloat16iN10test_utils4lessEEvPT3_PT4_T5_,"axG",@progbits,_Z21sort_keys_values_fullILj32ELj32ELj1ELb0E12hip_bfloat16iN10test_utils4lessEEvPT3_PT4_T5_,comdat
.Lfunc_end38:
	.size	_Z21sort_keys_values_fullILj32ELj32ELj1ELb0E12hip_bfloat16iN10test_utils4lessEEvPT3_PT4_T5_, .Lfunc_end38-_Z21sort_keys_values_fullILj32ELj32ELj1ELb0E12hip_bfloat16iN10test_utils4lessEEvPT3_PT4_T5_
                                        ; -- End function
	.set _Z21sort_keys_values_fullILj32ELj32ELj1ELb0E12hip_bfloat16iN10test_utils4lessEEvPT3_PT4_T5_.num_vgpr, 20
	.set _Z21sort_keys_values_fullILj32ELj32ELj1ELb0E12hip_bfloat16iN10test_utils4lessEEvPT3_PT4_T5_.num_agpr, 0
	.set _Z21sort_keys_values_fullILj32ELj32ELj1ELb0E12hip_bfloat16iN10test_utils4lessEEvPT3_PT4_T5_.numbered_sgpr, 8
	.set _Z21sort_keys_values_fullILj32ELj32ELj1ELb0E12hip_bfloat16iN10test_utils4lessEEvPT3_PT4_T5_.num_named_barrier, 0
	.set _Z21sort_keys_values_fullILj32ELj32ELj1ELb0E12hip_bfloat16iN10test_utils4lessEEvPT3_PT4_T5_.private_seg_size, 0
	.set _Z21sort_keys_values_fullILj32ELj32ELj1ELb0E12hip_bfloat16iN10test_utils4lessEEvPT3_PT4_T5_.uses_vcc, 1
	.set _Z21sort_keys_values_fullILj32ELj32ELj1ELb0E12hip_bfloat16iN10test_utils4lessEEvPT3_PT4_T5_.uses_flat_scratch, 0
	.set _Z21sort_keys_values_fullILj32ELj32ELj1ELb0E12hip_bfloat16iN10test_utils4lessEEvPT3_PT4_T5_.has_dyn_sized_stack, 0
	.set _Z21sort_keys_values_fullILj32ELj32ELj1ELb0E12hip_bfloat16iN10test_utils4lessEEvPT3_PT4_T5_.has_recursion, 0
	.set _Z21sort_keys_values_fullILj32ELj32ELj1ELb0E12hip_bfloat16iN10test_utils4lessEEvPT3_PT4_T5_.has_indirect_call, 0
	.section	.AMDGPU.csdata,"",@progbits
; Kernel info:
; codeLenInByte = 1556
; TotalNumSgprs: 12
; NumVgprs: 20
; ScratchSize: 0
; MemoryBound: 0
; FloatMode: 240
; IeeeMode: 1
; LDSByteSize: 132 bytes/workgroup (compile time only)
; SGPRBlocks: 1
; VGPRBlocks: 4
; NumSGPRsForWavesPerEU: 12
; NumVGPRsForWavesPerEU: 20
; Occupancy: 10
; WaveLimiterHint : 0
; COMPUTE_PGM_RSRC2:SCRATCH_EN: 0
; COMPUTE_PGM_RSRC2:USER_SGPR: 6
; COMPUTE_PGM_RSRC2:TRAP_HANDLER: 0
; COMPUTE_PGM_RSRC2:TGID_X_EN: 1
; COMPUTE_PGM_RSRC2:TGID_Y_EN: 0
; COMPUTE_PGM_RSRC2:TGID_Z_EN: 0
; COMPUTE_PGM_RSRC2:TIDIG_COMP_CNT: 0
	.section	.text._Z21sort_keys_values_fullILj32ELj32ELj1ELb0E6__halfiN10test_utils4lessEEvPT3_PT4_T5_,"axG",@progbits,_Z21sort_keys_values_fullILj32ELj32ELj1ELb0E6__halfiN10test_utils4lessEEvPT3_PT4_T5_,comdat
	.protected	_Z21sort_keys_values_fullILj32ELj32ELj1ELb0E6__halfiN10test_utils4lessEEvPT3_PT4_T5_ ; -- Begin function _Z21sort_keys_values_fullILj32ELj32ELj1ELb0E6__halfiN10test_utils4lessEEvPT3_PT4_T5_
	.globl	_Z21sort_keys_values_fullILj32ELj32ELj1ELb0E6__halfiN10test_utils4lessEEvPT3_PT4_T5_
	.p2align	8
	.type	_Z21sort_keys_values_fullILj32ELj32ELj1ELb0E6__halfiN10test_utils4lessEEvPT3_PT4_T5_,@function
_Z21sort_keys_values_fullILj32ELj32ELj1ELb0E6__halfiN10test_utils4lessEEvPT3_PT4_T5_: ; @_Z21sort_keys_values_fullILj32ELj32ELj1ELb0E6__halfiN10test_utils4lessEEvPT3_PT4_T5_
; %bb.0:
	s_load_dwordx4 s[0:3], s[4:5], 0x0
	s_lshl_b32 s4, s6, 5
	s_mov_b32 s5, 0
	s_lshl_b64 s[6:7], s[4:5], 1
	v_lshlrev_b32_e32 v1, 1, v0
	s_waitcnt lgkmcnt(0)
	s_add_u32 s0, s0, s6
	s_addc_u32 s1, s1, s7
	s_lshl_b64 s[4:5], s[4:5], 2
	global_load_ushort v13, v1, s[0:1]
	s_add_u32 s2, s2, s4
	s_addc_u32 s3, s3, s5
	v_lshlrev_b32_e32 v2, 2, v0
	global_load_dword v8, v2, s[2:3]
	v_mbcnt_lo_u32_b32 v0, -1, 0
	v_mbcnt_hi_u32_b32 v7, -1, v0
	v_and_b32_e32 v11, 30, v7
	v_mov_b32_e32 v3, s1
	v_add_co_u32_e32 v0, vcc, s0, v1
	v_and_b32_e32 v4, 31, v7
	v_or_b32_e32 v10, 1, v11
	v_addc_co_u32_e32 v1, vcc, 0, v3, vcc
	v_and_b32_e32 v9, 1, v7
	v_lshlrev_b32_e32 v5, 1, v4
	v_sub_u32_e32 v14, v10, v11
	v_mov_b32_e32 v3, s3
	v_add_co_u32_e32 v2, vcc, s2, v2
	; wave barrier
	v_addc_co_u32_e32 v3, vcc, 0, v3, vcc
	v_mov_b32_e32 v6, 0
	v_lshlrev_b32_e32 v12, 1, v11
	s_waitcnt vmcnt(1)
	ds_write_b16 v5, v13
	v_min_i32_e32 v13, v9, v14
	v_cmp_lt_i32_e32 vcc, 0, v13
	; wave barrier
	s_and_saveexec_b64 s[0:1], vcc
	s_cbranch_execz .LBB39_4
; %bb.1:
	v_mov_b32_e32 v13, 1
	v_lshl_add_u32 v14, v9, 1, v12
	s_mov_b64 s[2:3], 0
.LBB39_2:                               ; =>This Inner Loop Header: Depth=1
	v_sub_u32_e32 v15, v13, v6
	v_lshrrev_b32_e32 v15, 1, v15
	v_add_u32_e32 v15, v15, v6
	v_not_b32_e32 v17, v15
	v_lshl_add_u32 v16, v15, 1, v12
	v_lshl_add_u32 v17, v17, 1, v14
	ds_read_u16 v16, v16
	ds_read_u16 v17, v17 offset:2
	v_add_u32_e32 v18, 1, v15
	s_waitcnt lgkmcnt(0)
	v_cmp_lt_f16_e32 vcc, v17, v16
	v_cndmask_b32_e32 v13, v13, v15, vcc
	v_cndmask_b32_e32 v6, v18, v6, vcc
	v_cmp_ge_i32_e32 vcc, v6, v13
	s_or_b64 s[2:3], vcc, s[2:3]
	s_andn2_b64 exec, exec, s[2:3]
	s_cbranch_execnz .LBB39_2
; %bb.3:
	s_or_b64 exec, exec, s[2:3]
.LBB39_4:
	s_or_b64 exec, exec, s[0:1]
	v_add_u32_e32 v13, v6, v11
	v_add_u32_e32 v11, v11, v9
	v_sub_u32_e32 v11, v11, v6
	v_lshl_add_u32 v12, v6, 1, v12
	v_lshlrev_b32_e32 v11, 1, v11
	ds_read_u16 v12, v12
	ds_read_u16 v11, v11 offset:2
	v_add_u32_e32 v9, v10, v9
	v_sub_u32_e32 v9, v9, v6
	v_cmp_lt_i32_e64 s[0:1], 0, v6
	v_cmp_ge_i32_e32 vcc, v10, v9
	s_waitcnt lgkmcnt(0)
	v_cmp_lt_f16_e64 s[2:3], v11, v12
	s_or_b64 s[0:1], s[0:1], s[2:3]
	s_and_b64 vcc, vcc, s[0:1]
	v_cndmask_b32_e32 v9, v13, v9, vcc
	v_add_u32_e32 v6, v5, v5
	; wave barrier
	s_waitcnt vmcnt(0)
	ds_write_b32 v6, v8
	v_lshlrev_b32_e32 v8, 2, v9
	v_cndmask_b32_e32 v10, v12, v11, vcc
	; wave barrier
	ds_read_b32 v8, v8
	v_and_b32_e32 v12, 28, v7
	; wave barrier
	ds_write_b16 v5, v10
	v_or_b32_e32 v10, 2, v12
	v_and_b32_e32 v9, 3, v7
	v_sub_u32_e32 v14, v10, v12
	v_sub_u32_e64 v11, v9, 2 clamp
	v_min_i32_e32 v14, v9, v14
	v_lshlrev_b32_e32 v13, 1, v12
	v_cmp_lt_i32_e32 vcc, v11, v14
	; wave barrier
	s_and_saveexec_b64 s[0:1], vcc
	s_cbranch_execz .LBB39_8
; %bb.5:
	v_lshl_add_u32 v15, v9, 1, v13
	s_mov_b64 s[2:3], 0
.LBB39_6:                               ; =>This Inner Loop Header: Depth=1
	v_sub_u32_e32 v16, v14, v11
	v_lshrrev_b32_e32 v16, 1, v16
	v_add_u32_e32 v16, v16, v11
	v_not_b32_e32 v18, v16
	v_lshl_add_u32 v17, v16, 1, v13
	v_lshl_add_u32 v18, v18, 1, v15
	ds_read_u16 v17, v17
	ds_read_u16 v18, v18 offset:4
	v_add_u32_e32 v19, 1, v16
	s_waitcnt lgkmcnt(0)
	v_cmp_lt_f16_e32 vcc, v18, v17
	v_cndmask_b32_e32 v14, v14, v16, vcc
	v_cndmask_b32_e32 v11, v19, v11, vcc
	v_cmp_ge_i32_e32 vcc, v11, v14
	s_or_b64 s[2:3], vcc, s[2:3]
	s_andn2_b64 exec, exec, s[2:3]
	s_cbranch_execnz .LBB39_6
; %bb.7:
	s_or_b64 exec, exec, s[2:3]
.LBB39_8:
	s_or_b64 exec, exec, s[0:1]
	v_add_u32_e32 v14, 4, v12
	v_add_u32_e32 v15, v11, v12
	;; [unrolled: 1-line block ×3, first 2 shown]
	v_sub_u32_e32 v12, v12, v11
	v_lshl_add_u32 v13, v11, 1, v13
	v_lshlrev_b32_e32 v12, 1, v12
	ds_read_u16 v13, v13
	ds_read_u16 v12, v12 offset:4
	v_add_u32_e32 v9, v10, v9
	v_sub_u32_e32 v9, v9, v11
	v_cmp_lt_i32_e64 s[0:1], 1, v11
	v_cmp_gt_i32_e32 vcc, v14, v9
	s_waitcnt lgkmcnt(0)
	v_cmp_lt_f16_e64 s[2:3], v12, v13
	s_or_b64 s[0:1], s[0:1], s[2:3]
	s_and_b64 vcc, vcc, s[0:1]
	v_cndmask_b32_e32 v9, v15, v9, vcc
	; wave barrier
	ds_write_b32 v6, v8
	v_lshlrev_b32_e32 v8, 2, v9
	v_cndmask_b32_e32 v10, v13, v12, vcc
	; wave barrier
	ds_read_b32 v8, v8
	v_and_b32_e32 v12, 24, v7
	; wave barrier
	ds_write_b16 v5, v10
	v_or_b32_e32 v10, 4, v12
	v_and_b32_e32 v9, 7, v7
	v_sub_u32_e32 v14, v10, v12
	v_sub_u32_e64 v11, v9, 4 clamp
	v_min_i32_e32 v14, v9, v14
	v_lshlrev_b32_e32 v13, 1, v12
	v_cmp_lt_i32_e32 vcc, v11, v14
	; wave barrier
	s_and_saveexec_b64 s[0:1], vcc
	s_cbranch_execz .LBB39_12
; %bb.9:
	v_lshl_add_u32 v15, v9, 1, v13
	s_mov_b64 s[2:3], 0
.LBB39_10:                              ; =>This Inner Loop Header: Depth=1
	v_sub_u32_e32 v16, v14, v11
	v_lshrrev_b32_e32 v16, 1, v16
	v_add_u32_e32 v16, v16, v11
	v_not_b32_e32 v18, v16
	v_lshl_add_u32 v17, v16, 1, v13
	v_lshl_add_u32 v18, v18, 1, v15
	ds_read_u16 v17, v17
	ds_read_u16 v18, v18 offset:8
	v_add_u32_e32 v19, 1, v16
	s_waitcnt lgkmcnt(0)
	v_cmp_lt_f16_e32 vcc, v18, v17
	v_cndmask_b32_e32 v14, v14, v16, vcc
	v_cndmask_b32_e32 v11, v19, v11, vcc
	v_cmp_ge_i32_e32 vcc, v11, v14
	s_or_b64 s[2:3], vcc, s[2:3]
	s_andn2_b64 exec, exec, s[2:3]
	s_cbranch_execnz .LBB39_10
; %bb.11:
	s_or_b64 exec, exec, s[2:3]
.LBB39_12:
	s_or_b64 exec, exec, s[0:1]
	v_add_u32_e32 v14, 8, v12
	v_add_u32_e32 v15, v11, v12
	v_add_u32_e32 v12, v12, v9
	v_sub_u32_e32 v12, v12, v11
	v_lshl_add_u32 v13, v11, 1, v13
	v_lshlrev_b32_e32 v12, 1, v12
	ds_read_u16 v13, v13
	ds_read_u16 v12, v12 offset:8
	v_add_u32_e32 v9, v10, v9
	v_sub_u32_e32 v9, v9, v11
	v_cmp_lt_i32_e64 s[0:1], 3, v11
	v_cmp_gt_i32_e32 vcc, v14, v9
	s_waitcnt lgkmcnt(0)
	v_cmp_lt_f16_e64 s[2:3], v12, v13
	s_or_b64 s[0:1], s[0:1], s[2:3]
	s_and_b64 vcc, vcc, s[0:1]
	v_cndmask_b32_e32 v9, v15, v9, vcc
	; wave barrier
	ds_write_b32 v6, v8
	v_lshlrev_b32_e32 v8, 2, v9
	; wave barrier
	ds_read_b32 v8, v8
	v_and_b32_e32 v11, 16, v7
	v_or_b32_e32 v9, 8, v11
	v_cndmask_b32_e32 v10, v13, v12, vcc
	v_and_b32_e32 v7, 15, v7
	v_sub_u32_e32 v13, v9, v11
	; wave barrier
	ds_write_b16 v5, v10
	v_sub_u32_e64 v10, v7, 8 clamp
	v_min_i32_e32 v13, v7, v13
	v_lshlrev_b32_e32 v12, 1, v11
	v_cmp_lt_i32_e32 vcc, v10, v13
	; wave barrier
	s_and_saveexec_b64 s[0:1], vcc
	s_cbranch_execz .LBB39_16
; %bb.13:
	v_lshl_add_u32 v14, v7, 1, v12
	s_mov_b64 s[2:3], 0
.LBB39_14:                              ; =>This Inner Loop Header: Depth=1
	v_sub_u32_e32 v15, v13, v10
	v_lshrrev_b32_e32 v15, 1, v15
	v_add_u32_e32 v15, v15, v10
	v_not_b32_e32 v17, v15
	v_lshl_add_u32 v16, v15, 1, v12
	v_lshl_add_u32 v17, v17, 1, v14
	ds_read_u16 v16, v16
	ds_read_u16 v17, v17 offset:16
	v_add_u32_e32 v18, 1, v15
	s_waitcnt lgkmcnt(0)
	v_cmp_lt_f16_e32 vcc, v17, v16
	v_cndmask_b32_e32 v13, v13, v15, vcc
	v_cndmask_b32_e32 v10, v18, v10, vcc
	v_cmp_ge_i32_e32 vcc, v10, v13
	s_or_b64 s[2:3], vcc, s[2:3]
	s_andn2_b64 exec, exec, s[2:3]
	s_cbranch_execnz .LBB39_14
; %bb.15:
	s_or_b64 exec, exec, s[2:3]
.LBB39_16:
	s_or_b64 exec, exec, s[0:1]
	v_add_u32_e32 v13, 16, v11
	v_add_u32_e32 v14, v10, v11
	;; [unrolled: 1-line block ×3, first 2 shown]
	v_sub_u32_e32 v11, v11, v10
	v_lshl_add_u32 v12, v10, 1, v12
	v_lshlrev_b32_e32 v11, 1, v11
	ds_read_u16 v12, v12
	ds_read_u16 v11, v11 offset:16
	v_add_u32_e32 v7, v9, v7
	v_sub_u32_e32 v7, v7, v10
	v_cmp_lt_i32_e64 s[0:1], 7, v10
	v_cmp_gt_i32_e32 vcc, v13, v7
	s_waitcnt lgkmcnt(0)
	v_cmp_lt_f16_e64 s[2:3], v11, v12
	s_or_b64 s[0:1], s[0:1], s[2:3]
	s_and_b64 vcc, vcc, s[0:1]
	v_cndmask_b32_e32 v7, v14, v7, vcc
	v_lshlrev_b32_e32 v7, 2, v7
	; wave barrier
	ds_write_b32 v6, v8
	; wave barrier
	ds_read_b32 v7, v7
	v_cndmask_b32_e32 v9, v12, v11, vcc
	; wave barrier
	ds_write_b16 v5, v9
	v_sub_u32_e64 v8, v4, 16 clamp
	v_min_u32_e32 v9, 16, v4
	v_cmp_lt_u32_e32 vcc, v8, v9
	; wave barrier
	s_and_saveexec_b64 s[0:1], vcc
	s_cbranch_execz .LBB39_20
; %bb.17:
	s_mov_b64 s[2:3], 0
.LBB39_18:                              ; =>This Inner Loop Header: Depth=1
	v_sub_u32_e32 v10, v9, v8
	v_lshrrev_b32_e32 v10, 1, v10
	v_add_u32_e32 v10, v10, v8
	v_not_b32_e32 v12, v10
	v_lshlrev_b32_e32 v11, 1, v10
	v_lshl_add_u32 v12, v12, 1, v5
	ds_read_u16 v11, v11
	ds_read_u16 v12, v12 offset:32
	v_add_u32_e32 v13, 1, v10
	s_waitcnt lgkmcnt(0)
	v_cmp_lt_f16_e32 vcc, v12, v11
	v_cndmask_b32_e32 v9, v9, v10, vcc
	v_cndmask_b32_e32 v8, v13, v8, vcc
	v_cmp_ge_i32_e32 vcc, v8, v9
	s_or_b64 s[2:3], vcc, s[2:3]
	s_andn2_b64 exec, exec, s[2:3]
	s_cbranch_execnz .LBB39_18
; %bb.19:
	s_or_b64 exec, exec, s[2:3]
.LBB39_20:
	s_or_b64 exec, exec, s[0:1]
	v_sub_u32_e32 v4, v4, v8
	v_lshlrev_b32_e32 v5, 1, v8
	v_lshlrev_b32_e32 v9, 1, v4
	ds_read_u16 v5, v5
	ds_read_u16 v9, v9 offset:32
	v_add_u32_e32 v4, 16, v4
	v_cmp_lt_i32_e64 s[0:1], 15, v8
	v_cmp_gt_i32_e32 vcc, 32, v4
	s_waitcnt lgkmcnt(0)
	v_cmp_lt_f16_e64 s[2:3], v9, v5
	s_or_b64 s[0:1], s[0:1], s[2:3]
	s_and_b64 vcc, vcc, s[0:1]
	v_cndmask_b32_e32 v4, v8, v4, vcc
	v_lshlrev_b32_e32 v4, 2, v4
	; wave barrier
	ds_write_b32 v6, v7
	; wave barrier
	ds_read_b32 v4, v4
	v_cndmask_b32_e32 v5, v5, v9, vcc
	global_store_short v[0:1], v5, off
	s_waitcnt lgkmcnt(0)
	global_store_dword v[2:3], v4, off
	s_endpgm
	.section	.rodata,"a",@progbits
	.p2align	6, 0x0
	.amdhsa_kernel _Z21sort_keys_values_fullILj32ELj32ELj1ELb0E6__halfiN10test_utils4lessEEvPT3_PT4_T5_
		.amdhsa_group_segment_fixed_size 132
		.amdhsa_private_segment_fixed_size 0
		.amdhsa_kernarg_size 20
		.amdhsa_user_sgpr_count 6
		.amdhsa_user_sgpr_private_segment_buffer 1
		.amdhsa_user_sgpr_dispatch_ptr 0
		.amdhsa_user_sgpr_queue_ptr 0
		.amdhsa_user_sgpr_kernarg_segment_ptr 1
		.amdhsa_user_sgpr_dispatch_id 0
		.amdhsa_user_sgpr_flat_scratch_init 0
		.amdhsa_user_sgpr_private_segment_size 0
		.amdhsa_uses_dynamic_stack 0
		.amdhsa_system_sgpr_private_segment_wavefront_offset 0
		.amdhsa_system_sgpr_workgroup_id_x 1
		.amdhsa_system_sgpr_workgroup_id_y 0
		.amdhsa_system_sgpr_workgroup_id_z 0
		.amdhsa_system_sgpr_workgroup_info 0
		.amdhsa_system_vgpr_workitem_id 0
		.amdhsa_next_free_vgpr 20
		.amdhsa_next_free_sgpr 8
		.amdhsa_reserve_vcc 1
		.amdhsa_reserve_flat_scratch 0
		.amdhsa_float_round_mode_32 0
		.amdhsa_float_round_mode_16_64 0
		.amdhsa_float_denorm_mode_32 3
		.amdhsa_float_denorm_mode_16_64 3
		.amdhsa_dx10_clamp 1
		.amdhsa_ieee_mode 1
		.amdhsa_fp16_overflow 0
		.amdhsa_exception_fp_ieee_invalid_op 0
		.amdhsa_exception_fp_denorm_src 0
		.amdhsa_exception_fp_ieee_div_zero 0
		.amdhsa_exception_fp_ieee_overflow 0
		.amdhsa_exception_fp_ieee_underflow 0
		.amdhsa_exception_fp_ieee_inexact 0
		.amdhsa_exception_int_div_zero 0
	.end_amdhsa_kernel
	.section	.text._Z21sort_keys_values_fullILj32ELj32ELj1ELb0E6__halfiN10test_utils4lessEEvPT3_PT4_T5_,"axG",@progbits,_Z21sort_keys_values_fullILj32ELj32ELj1ELb0E6__halfiN10test_utils4lessEEvPT3_PT4_T5_,comdat
.Lfunc_end39:
	.size	_Z21sort_keys_values_fullILj32ELj32ELj1ELb0E6__halfiN10test_utils4lessEEvPT3_PT4_T5_, .Lfunc_end39-_Z21sort_keys_values_fullILj32ELj32ELj1ELb0E6__halfiN10test_utils4lessEEvPT3_PT4_T5_
                                        ; -- End function
	.set _Z21sort_keys_values_fullILj32ELj32ELj1ELb0E6__halfiN10test_utils4lessEEvPT3_PT4_T5_.num_vgpr, 20
	.set _Z21sort_keys_values_fullILj32ELj32ELj1ELb0E6__halfiN10test_utils4lessEEvPT3_PT4_T5_.num_agpr, 0
	.set _Z21sort_keys_values_fullILj32ELj32ELj1ELb0E6__halfiN10test_utils4lessEEvPT3_PT4_T5_.numbered_sgpr, 8
	.set _Z21sort_keys_values_fullILj32ELj32ELj1ELb0E6__halfiN10test_utils4lessEEvPT3_PT4_T5_.num_named_barrier, 0
	.set _Z21sort_keys_values_fullILj32ELj32ELj1ELb0E6__halfiN10test_utils4lessEEvPT3_PT4_T5_.private_seg_size, 0
	.set _Z21sort_keys_values_fullILj32ELj32ELj1ELb0E6__halfiN10test_utils4lessEEvPT3_PT4_T5_.uses_vcc, 1
	.set _Z21sort_keys_values_fullILj32ELj32ELj1ELb0E6__halfiN10test_utils4lessEEvPT3_PT4_T5_.uses_flat_scratch, 0
	.set _Z21sort_keys_values_fullILj32ELj32ELj1ELb0E6__halfiN10test_utils4lessEEvPT3_PT4_T5_.has_dyn_sized_stack, 0
	.set _Z21sort_keys_values_fullILj32ELj32ELj1ELb0E6__halfiN10test_utils4lessEEvPT3_PT4_T5_.has_recursion, 0
	.set _Z21sort_keys_values_fullILj32ELj32ELj1ELb0E6__halfiN10test_utils4lessEEvPT3_PT4_T5_.has_indirect_call, 0
	.section	.AMDGPU.csdata,"",@progbits
; Kernel info:
; codeLenInByte = 1436
; TotalNumSgprs: 12
; NumVgprs: 20
; ScratchSize: 0
; MemoryBound: 0
; FloatMode: 240
; IeeeMode: 1
; LDSByteSize: 132 bytes/workgroup (compile time only)
; SGPRBlocks: 1
; VGPRBlocks: 4
; NumSGPRsForWavesPerEU: 12
; NumVGPRsForWavesPerEU: 20
; Occupancy: 10
; WaveLimiterHint : 0
; COMPUTE_PGM_RSRC2:SCRATCH_EN: 0
; COMPUTE_PGM_RSRC2:USER_SGPR: 6
; COMPUTE_PGM_RSRC2:TRAP_HANDLER: 0
; COMPUTE_PGM_RSRC2:TGID_X_EN: 1
; COMPUTE_PGM_RSRC2:TGID_Y_EN: 0
; COMPUTE_PGM_RSRC2:TGID_Z_EN: 0
; COMPUTE_PGM_RSRC2:TIDIG_COMP_CNT: 0
	.section	.text._Z21sort_keys_values_fullILj512ELj64ELj1ELb0EsiN10test_utils4lessEEvPT3_PT4_T5_,"axG",@progbits,_Z21sort_keys_values_fullILj512ELj64ELj1ELb0EsiN10test_utils4lessEEvPT3_PT4_T5_,comdat
	.protected	_Z21sort_keys_values_fullILj512ELj64ELj1ELb0EsiN10test_utils4lessEEvPT3_PT4_T5_ ; -- Begin function _Z21sort_keys_values_fullILj512ELj64ELj1ELb0EsiN10test_utils4lessEEvPT3_PT4_T5_
	.globl	_Z21sort_keys_values_fullILj512ELj64ELj1ELb0EsiN10test_utils4lessEEvPT3_PT4_T5_
	.p2align	8
	.type	_Z21sort_keys_values_fullILj512ELj64ELj1ELb0EsiN10test_utils4lessEEvPT3_PT4_T5_,@function
_Z21sort_keys_values_fullILj512ELj64ELj1ELb0EsiN10test_utils4lessEEvPT3_PT4_T5_: ; @_Z21sort_keys_values_fullILj512ELj64ELj1ELb0EsiN10test_utils4lessEEvPT3_PT4_T5_
; %bb.0:
	s_load_dwordx4 s[0:3], s[4:5], 0x0
	s_lshl_b32 s4, s6, 9
	s_mov_b32 s5, 0
	s_lshl_b64 s[6:7], s[4:5], 1
	v_lshlrev_b32_e32 v1, 1, v0
	s_waitcnt lgkmcnt(0)
	s_add_u32 s0, s0, s6
	s_addc_u32 s1, s1, s7
	s_lshl_b64 s[4:5], s[4:5], 2
	global_load_ushort v15, v1, s[0:1]
	s_add_u32 s2, s2, s4
	s_addc_u32 s3, s3, s5
	v_lshlrev_b32_e32 v2, 2, v0
	global_load_dword v8, v2, s[2:3]
	v_mbcnt_lo_u32_b32 v3, -1, 0
	v_mbcnt_hi_u32_b32 v5, -1, v3
	v_and_b32_e32 v3, 0x7e, v5
	v_min_i32_e32 v9, 64, v3
	v_or_b32_e32 v3, 1, v9
	s_movk_i32 s4, 0x104
	v_lshrrev_b32_e32 v0, 6, v0
	v_lshlrev_b32_e32 v7, 1, v5
	v_lshlrev_b32_e32 v13, 1, v9
	v_min_i32_e32 v11, 64, v3
	v_min_i32_e32 v12, 63, v3
	v_mul_u32_u24_e32 v4, 0x104, v0
	v_mad_u32_u24 v6, v0, s4, v7
	v_mad_u32_u24 v13, v0, s4, v13
	v_sub_u32_e32 v0, v12, v11
	v_add_u32_e32 v3, 1, v0
	v_mov_b32_e32 v14, s1
	v_add_co_u32_e32 v0, vcc, s0, v1
	v_and_b32_e32 v10, 1, v5
	v_addc_co_u32_e32 v1, vcc, 0, v14, vcc
	v_sub_u32_e32 v17, v10, v3
	v_cmp_ge_i32_e32 vcc, v10, v3
	v_sub_u32_e32 v16, v11, v9
	v_cndmask_b32_e32 v14, 0, v17, vcc
	v_mov_b32_e32 v3, s3
	v_add_co_u32_e32 v2, vcc, s2, v2
	; wave barrier
	v_addc_co_u32_e32 v3, vcc, 0, v3, vcc
	s_waitcnt vmcnt(1)
	ds_write_b16 v6, v15
	v_min_i32_e32 v15, v10, v16
	v_cmp_lt_i32_e32 vcc, v14, v15
	; wave barrier
	s_and_saveexec_b64 s[0:1], vcc
	s_cbranch_execz .LBB40_4
; %bb.1:
	v_lshlrev_b32_e32 v16, 1, v11
	v_lshlrev_b32_e32 v17, 1, v10
	v_add3_u32 v16, v4, v16, v17
	s_mov_b64 s[2:3], 0
.LBB40_2:                               ; =>This Inner Loop Header: Depth=1
	v_sub_u32_e32 v17, v15, v14
	v_lshrrev_b32_e32 v17, 1, v17
	v_add_u32_e32 v17, v17, v14
	v_not_b32_e32 v19, v17
	v_lshl_add_u32 v18, v17, 1, v13
	v_lshl_add_u32 v19, v19, 1, v16
	ds_read_u16 v18, v18
	ds_read_u16 v19, v19
	v_add_u32_e32 v20, 1, v17
	s_waitcnt lgkmcnt(0)
	v_cmp_lt_i16_e32 vcc, v19, v18
	v_cndmask_b32_e32 v15, v15, v17, vcc
	v_cndmask_b32_e32 v14, v20, v14, vcc
	v_cmp_ge_i32_e32 vcc, v14, v15
	s_or_b64 s[2:3], vcc, s[2:3]
	s_andn2_b64 exec, exec, s[2:3]
	s_cbranch_execnz .LBB40_2
; %bb.3:
	s_or_b64 exec, exec, s[2:3]
.LBB40_4:
	s_or_b64 exec, exec, s[0:1]
	v_add_u32_e32 v10, v11, v10
	v_sub_u32_e32 v10, v10, v14
	v_lshl_add_u32 v13, v14, 1, v13
	v_lshl_add_u32 v15, v10, 1, v4
	ds_read_u16 v13, v13
	ds_read_u16 v15, v15
	v_add_u32_e32 v9, v14, v9
	v_cmp_le_i32_e64 s[0:1], v11, v9
	v_cmp_ge_i32_e32 vcc, v12, v10
	v_add_u32_e32 v7, v6, v7
	s_waitcnt lgkmcnt(0)
	v_cmp_lt_i16_e64 s[2:3], v15, v13
	s_or_b64 s[0:1], s[0:1], s[2:3]
	s_and_b64 vcc, vcc, s[0:1]
	v_cndmask_b32_e32 v9, v9, v10, vcc
	; wave barrier
	s_waitcnt vmcnt(0)
	ds_write_b32 v7, v8
	v_lshl_add_u32 v8, v9, 2, v4
	v_and_b32_e32 v9, 0x7c, v5
	v_cndmask_b32_e32 v11, v13, v15, vcc
	v_min_i32_e32 v9, 64, v9
	; wave barrier
	ds_read_b32 v8, v8
	; wave barrier
	ds_write_b16 v6, v11
	v_or_b32_e32 v11, 2, v9
	v_min_i32_e32 v10, 64, v11
	v_min_i32_e32 v11, 62, v11
	v_add_u32_e32 v11, 2, v11
	v_and_b32_e32 v12, 3, v5
	v_sub_u32_e32 v13, v11, v10
	v_sub_u32_e32 v15, v10, v9
	;; [unrolled: 1-line block ×3, first 2 shown]
	v_cmp_ge_i32_e32 vcc, v12, v13
	v_cndmask_b32_e32 v13, 0, v16, vcc
	v_min_i32_e32 v15, v12, v15
	v_lshl_add_u32 v14, v9, 1, v4
	v_cmp_lt_i32_e32 vcc, v13, v15
	; wave barrier
	s_and_saveexec_b64 s[0:1], vcc
	s_cbranch_execz .LBB40_8
; %bb.5:
	v_lshlrev_b32_e32 v16, 1, v10
	v_lshlrev_b32_e32 v17, 1, v12
	v_add3_u32 v16, v4, v16, v17
	s_mov_b64 s[2:3], 0
.LBB40_6:                               ; =>This Inner Loop Header: Depth=1
	v_sub_u32_e32 v17, v15, v13
	v_lshrrev_b32_e32 v17, 1, v17
	v_add_u32_e32 v17, v17, v13
	v_not_b32_e32 v19, v17
	v_lshl_add_u32 v18, v17, 1, v14
	v_lshl_add_u32 v19, v19, 1, v16
	ds_read_u16 v18, v18
	ds_read_u16 v19, v19
	v_add_u32_e32 v20, 1, v17
	s_waitcnt lgkmcnt(0)
	v_cmp_lt_i16_e32 vcc, v19, v18
	v_cndmask_b32_e32 v15, v15, v17, vcc
	v_cndmask_b32_e32 v13, v20, v13, vcc
	v_cmp_ge_i32_e32 vcc, v13, v15
	s_or_b64 s[2:3], vcc, s[2:3]
	s_andn2_b64 exec, exec, s[2:3]
	s_cbranch_execnz .LBB40_6
; %bb.7:
	s_or_b64 exec, exec, s[2:3]
.LBB40_8:
	s_or_b64 exec, exec, s[0:1]
	v_add_u32_e32 v12, v10, v12
	v_sub_u32_e32 v12, v12, v13
	v_lshl_add_u32 v14, v13, 1, v14
	v_lshl_add_u32 v15, v12, 1, v4
	ds_read_u16 v14, v14
	ds_read_u16 v15, v15
	v_add_u32_e32 v9, v13, v9
	v_cmp_le_i32_e64 s[0:1], v10, v9
	v_cmp_gt_i32_e32 vcc, v11, v12
	s_waitcnt lgkmcnt(0)
	v_cmp_lt_i16_e64 s[2:3], v15, v14
	s_or_b64 s[0:1], s[0:1], s[2:3]
	s_and_b64 vcc, vcc, s[0:1]
	v_cndmask_b32_e32 v9, v9, v12, vcc
	; wave barrier
	ds_write_b32 v7, v8
	v_lshl_add_u32 v8, v9, 2, v4
	v_and_b32_e32 v9, 0x78, v5
	v_min_i32_e32 v9, 64, v9
	v_cndmask_b32_e32 v10, v14, v15, vcc
	v_or_b32_e32 v11, 4, v9
	; wave barrier
	ds_read_b32 v8, v8
	; wave barrier
	ds_write_b16 v6, v10
	v_min_i32_e32 v10, 64, v11
	v_min_i32_e32 v11, 60, v11
	v_add_u32_e32 v11, 4, v11
	v_and_b32_e32 v12, 7, v5
	v_sub_u32_e32 v13, v11, v10
	v_sub_u32_e32 v15, v10, v9
	;; [unrolled: 1-line block ×3, first 2 shown]
	v_cmp_ge_i32_e32 vcc, v12, v13
	v_cndmask_b32_e32 v13, 0, v16, vcc
	v_min_i32_e32 v15, v12, v15
	v_lshl_add_u32 v14, v9, 1, v4
	v_cmp_lt_i32_e32 vcc, v13, v15
	; wave barrier
	s_and_saveexec_b64 s[0:1], vcc
	s_cbranch_execz .LBB40_12
; %bb.9:
	v_lshlrev_b32_e32 v16, 1, v10
	v_lshlrev_b32_e32 v17, 1, v12
	v_add3_u32 v16, v4, v16, v17
	s_mov_b64 s[2:3], 0
.LBB40_10:                              ; =>This Inner Loop Header: Depth=1
	v_sub_u32_e32 v17, v15, v13
	v_lshrrev_b32_e32 v17, 1, v17
	v_add_u32_e32 v17, v17, v13
	v_not_b32_e32 v19, v17
	v_lshl_add_u32 v18, v17, 1, v14
	v_lshl_add_u32 v19, v19, 1, v16
	ds_read_u16 v18, v18
	ds_read_u16 v19, v19
	v_add_u32_e32 v20, 1, v17
	s_waitcnt lgkmcnt(0)
	v_cmp_lt_i16_e32 vcc, v19, v18
	v_cndmask_b32_e32 v15, v15, v17, vcc
	v_cndmask_b32_e32 v13, v20, v13, vcc
	v_cmp_ge_i32_e32 vcc, v13, v15
	s_or_b64 s[2:3], vcc, s[2:3]
	s_andn2_b64 exec, exec, s[2:3]
	s_cbranch_execnz .LBB40_10
; %bb.11:
	s_or_b64 exec, exec, s[2:3]
.LBB40_12:
	s_or_b64 exec, exec, s[0:1]
	v_add_u32_e32 v12, v10, v12
	v_sub_u32_e32 v12, v12, v13
	v_lshl_add_u32 v14, v13, 1, v14
	v_lshl_add_u32 v15, v12, 1, v4
	ds_read_u16 v14, v14
	ds_read_u16 v15, v15
	v_add_u32_e32 v9, v13, v9
	v_cmp_le_i32_e64 s[0:1], v10, v9
	v_cmp_gt_i32_e32 vcc, v11, v12
	s_waitcnt lgkmcnt(0)
	v_cmp_lt_i16_e64 s[2:3], v15, v14
	s_or_b64 s[0:1], s[0:1], s[2:3]
	s_and_b64 vcc, vcc, s[0:1]
	v_cndmask_b32_e32 v9, v9, v12, vcc
	; wave barrier
	ds_write_b32 v7, v8
	v_lshl_add_u32 v8, v9, 2, v4
	v_and_b32_e32 v9, 0x70, v5
	v_min_i32_e32 v9, 64, v9
	v_cndmask_b32_e32 v10, v14, v15, vcc
	v_or_b32_e32 v11, 8, v9
	; wave barrier
	ds_read_b32 v8, v8
	; wave barrier
	ds_write_b16 v6, v10
	v_min_i32_e32 v10, 64, v11
	v_min_i32_e32 v11, 56, v11
	v_add_u32_e32 v11, 8, v11
	v_and_b32_e32 v12, 15, v5
	v_sub_u32_e32 v13, v11, v10
	v_sub_u32_e32 v15, v10, v9
	;; [unrolled: 1-line block ×3, first 2 shown]
	v_cmp_ge_i32_e32 vcc, v12, v13
	v_cndmask_b32_e32 v13, 0, v16, vcc
	v_min_i32_e32 v15, v12, v15
	v_lshl_add_u32 v14, v9, 1, v4
	v_cmp_lt_i32_e32 vcc, v13, v15
	; wave barrier
	s_and_saveexec_b64 s[0:1], vcc
	s_cbranch_execz .LBB40_16
; %bb.13:
	v_lshlrev_b32_e32 v16, 1, v10
	v_lshlrev_b32_e32 v17, 1, v12
	v_add3_u32 v16, v4, v16, v17
	s_mov_b64 s[2:3], 0
.LBB40_14:                              ; =>This Inner Loop Header: Depth=1
	v_sub_u32_e32 v17, v15, v13
	v_lshrrev_b32_e32 v17, 1, v17
	v_add_u32_e32 v17, v17, v13
	v_not_b32_e32 v19, v17
	v_lshl_add_u32 v18, v17, 1, v14
	v_lshl_add_u32 v19, v19, 1, v16
	ds_read_u16 v18, v18
	ds_read_u16 v19, v19
	v_add_u32_e32 v20, 1, v17
	s_waitcnt lgkmcnt(0)
	v_cmp_lt_i16_e32 vcc, v19, v18
	v_cndmask_b32_e32 v15, v15, v17, vcc
	v_cndmask_b32_e32 v13, v20, v13, vcc
	v_cmp_ge_i32_e32 vcc, v13, v15
	s_or_b64 s[2:3], vcc, s[2:3]
	s_andn2_b64 exec, exec, s[2:3]
	s_cbranch_execnz .LBB40_14
; %bb.15:
	s_or_b64 exec, exec, s[2:3]
.LBB40_16:
	s_or_b64 exec, exec, s[0:1]
	v_add_u32_e32 v12, v10, v12
	v_sub_u32_e32 v12, v12, v13
	v_lshl_add_u32 v14, v13, 1, v14
	v_lshl_add_u32 v15, v12, 1, v4
	ds_read_u16 v14, v14
	ds_read_u16 v15, v15
	v_add_u32_e32 v9, v13, v9
	v_cmp_le_i32_e64 s[0:1], v10, v9
	v_cmp_gt_i32_e32 vcc, v11, v12
	s_waitcnt lgkmcnt(0)
	v_cmp_lt_i16_e64 s[2:3], v15, v14
	s_or_b64 s[0:1], s[0:1], s[2:3]
	s_and_b64 vcc, vcc, s[0:1]
	v_cndmask_b32_e32 v9, v9, v12, vcc
	; wave barrier
	ds_write_b32 v7, v8
	v_lshl_add_u32 v8, v9, 2, v4
	v_and_b32_e32 v9, 0x60, v5
	v_min_i32_e32 v9, 64, v9
	v_cndmask_b32_e32 v10, v14, v15, vcc
	v_or_b32_e32 v11, 16, v9
	; wave barrier
	ds_read_b32 v8, v8
	; wave barrier
	ds_write_b16 v6, v10
	v_min_i32_e32 v10, 64, v11
	v_min_i32_e32 v11, 48, v11
	v_add_u32_e32 v11, 16, v11
	v_and_b32_e32 v12, 31, v5
	v_sub_u32_e32 v13, v11, v10
	v_sub_u32_e32 v15, v10, v9
	;; [unrolled: 1-line block ×3, first 2 shown]
	v_cmp_ge_i32_e32 vcc, v12, v13
	v_cndmask_b32_e32 v13, 0, v16, vcc
	v_min_i32_e32 v15, v12, v15
	v_lshl_add_u32 v14, v9, 1, v4
	v_cmp_lt_i32_e32 vcc, v13, v15
	; wave barrier
	s_and_saveexec_b64 s[0:1], vcc
	s_cbranch_execz .LBB40_20
; %bb.17:
	v_lshlrev_b32_e32 v16, 1, v10
	v_lshlrev_b32_e32 v17, 1, v12
	v_add3_u32 v16, v4, v16, v17
	s_mov_b64 s[2:3], 0
.LBB40_18:                              ; =>This Inner Loop Header: Depth=1
	v_sub_u32_e32 v17, v15, v13
	v_lshrrev_b32_e32 v17, 1, v17
	v_add_u32_e32 v17, v17, v13
	v_not_b32_e32 v19, v17
	v_lshl_add_u32 v18, v17, 1, v14
	v_lshl_add_u32 v19, v19, 1, v16
	ds_read_u16 v18, v18
	ds_read_u16 v19, v19
	v_add_u32_e32 v20, 1, v17
	s_waitcnt lgkmcnt(0)
	v_cmp_lt_i16_e32 vcc, v19, v18
	v_cndmask_b32_e32 v15, v15, v17, vcc
	v_cndmask_b32_e32 v13, v20, v13, vcc
	v_cmp_ge_i32_e32 vcc, v13, v15
	s_or_b64 s[2:3], vcc, s[2:3]
	s_andn2_b64 exec, exec, s[2:3]
	s_cbranch_execnz .LBB40_18
; %bb.19:
	s_or_b64 exec, exec, s[2:3]
.LBB40_20:
	s_or_b64 exec, exec, s[0:1]
	v_add_u32_e32 v12, v10, v12
	v_sub_u32_e32 v12, v12, v13
	v_lshl_add_u32 v14, v13, 1, v14
	v_lshl_add_u32 v15, v12, 1, v4
	ds_read_u16 v14, v14
	ds_read_u16 v15, v15
	v_add_u32_e32 v9, v13, v9
	v_cmp_le_i32_e64 s[0:1], v10, v9
	v_cmp_gt_i32_e32 vcc, v11, v12
	s_waitcnt lgkmcnt(0)
	v_cmp_lt_i16_e64 s[2:3], v15, v14
	s_or_b64 s[0:1], s[0:1], s[2:3]
	s_and_b64 vcc, vcc, s[0:1]
	v_cndmask_b32_e32 v9, v9, v12, vcc
	v_cndmask_b32_e32 v10, v14, v15, vcc
	; wave barrier
	ds_write_b32 v7, v8
	v_lshl_add_u32 v8, v9, 2, v4
	; wave barrier
	ds_read_b32 v8, v8
	; wave barrier
	ds_write_b16 v6, v10
	v_and_b32_e32 v6, 64, v5
	v_and_b32_e32 v9, 63, v5
	v_or_b32_e32 v5, 32, v6
	v_min_i32_e32 v5, 64, v5
	v_sub_u32_e32 v10, 64, v5
	v_sub_u32_e32 v12, v5, v6
	;; [unrolled: 1-line block ×3, first 2 shown]
	v_cmp_ge_i32_e32 vcc, v9, v10
	v_cndmask_b32_e32 v10, 0, v13, vcc
	v_min_i32_e32 v12, v9, v12
	v_lshl_add_u32 v11, v6, 1, v4
	v_cmp_lt_i32_e32 vcc, v10, v12
	; wave barrier
	s_and_saveexec_b64 s[0:1], vcc
	s_cbranch_execz .LBB40_24
; %bb.21:
	v_lshlrev_b32_e32 v13, 1, v5
	v_lshlrev_b32_e32 v14, 1, v9
	v_add3_u32 v13, v4, v13, v14
	s_mov_b64 s[2:3], 0
.LBB40_22:                              ; =>This Inner Loop Header: Depth=1
	v_sub_u32_e32 v14, v12, v10
	v_lshrrev_b32_e32 v14, 1, v14
	v_add_u32_e32 v14, v14, v10
	v_not_b32_e32 v16, v14
	v_lshl_add_u32 v15, v14, 1, v11
	v_lshl_add_u32 v16, v16, 1, v13
	ds_read_u16 v15, v15
	ds_read_u16 v16, v16
	v_add_u32_e32 v17, 1, v14
	s_waitcnt lgkmcnt(0)
	v_cmp_lt_i16_e32 vcc, v16, v15
	v_cndmask_b32_e32 v12, v12, v14, vcc
	v_cndmask_b32_e32 v10, v17, v10, vcc
	v_cmp_ge_i32_e32 vcc, v10, v12
	s_or_b64 s[2:3], vcc, s[2:3]
	s_andn2_b64 exec, exec, s[2:3]
	s_cbranch_execnz .LBB40_22
; %bb.23:
	s_or_b64 exec, exec, s[2:3]
.LBB40_24:
	s_or_b64 exec, exec, s[0:1]
	v_add_u32_e32 v9, v5, v9
	v_sub_u32_e32 v9, v9, v10
	v_lshl_add_u32 v11, v10, 1, v11
	v_lshl_add_u32 v12, v9, 1, v4
	ds_read_u16 v11, v11
	ds_read_u16 v12, v12
	v_add_u32_e32 v6, v10, v6
	v_cmp_le_i32_e64 s[0:1], v5, v6
	v_cmp_gt_i32_e32 vcc, 64, v9
	s_waitcnt lgkmcnt(0)
	v_cmp_lt_i16_e64 s[2:3], v12, v11
	s_or_b64 s[0:1], s[0:1], s[2:3]
	s_and_b64 vcc, vcc, s[0:1]
	v_cndmask_b32_e32 v6, v6, v9, vcc
	v_lshl_add_u32 v4, v6, 2, v4
	; wave barrier
	ds_write_b32 v7, v8
	; wave barrier
	ds_read_b32 v4, v4
	v_cndmask_b32_e32 v5, v11, v12, vcc
	global_store_short v[0:1], v5, off
	s_waitcnt lgkmcnt(0)
	global_store_dword v[2:3], v4, off
	s_endpgm
	.section	.rodata,"a",@progbits
	.p2align	6, 0x0
	.amdhsa_kernel _Z21sort_keys_values_fullILj512ELj64ELj1ELb0EsiN10test_utils4lessEEvPT3_PT4_T5_
		.amdhsa_group_segment_fixed_size 2080
		.amdhsa_private_segment_fixed_size 0
		.amdhsa_kernarg_size 20
		.amdhsa_user_sgpr_count 6
		.amdhsa_user_sgpr_private_segment_buffer 1
		.amdhsa_user_sgpr_dispatch_ptr 0
		.amdhsa_user_sgpr_queue_ptr 0
		.amdhsa_user_sgpr_kernarg_segment_ptr 1
		.amdhsa_user_sgpr_dispatch_id 0
		.amdhsa_user_sgpr_flat_scratch_init 0
		.amdhsa_user_sgpr_private_segment_size 0
		.amdhsa_uses_dynamic_stack 0
		.amdhsa_system_sgpr_private_segment_wavefront_offset 0
		.amdhsa_system_sgpr_workgroup_id_x 1
		.amdhsa_system_sgpr_workgroup_id_y 0
		.amdhsa_system_sgpr_workgroup_id_z 0
		.amdhsa_system_sgpr_workgroup_info 0
		.amdhsa_system_vgpr_workitem_id 0
		.amdhsa_next_free_vgpr 21
		.amdhsa_next_free_sgpr 8
		.amdhsa_reserve_vcc 1
		.amdhsa_reserve_flat_scratch 0
		.amdhsa_float_round_mode_32 0
		.amdhsa_float_round_mode_16_64 0
		.amdhsa_float_denorm_mode_32 3
		.amdhsa_float_denorm_mode_16_64 3
		.amdhsa_dx10_clamp 1
		.amdhsa_ieee_mode 1
		.amdhsa_fp16_overflow 0
		.amdhsa_exception_fp_ieee_invalid_op 0
		.amdhsa_exception_fp_denorm_src 0
		.amdhsa_exception_fp_ieee_div_zero 0
		.amdhsa_exception_fp_ieee_overflow 0
		.amdhsa_exception_fp_ieee_underflow 0
		.amdhsa_exception_fp_ieee_inexact 0
		.amdhsa_exception_int_div_zero 0
	.end_amdhsa_kernel
	.section	.text._Z21sort_keys_values_fullILj512ELj64ELj1ELb0EsiN10test_utils4lessEEvPT3_PT4_T5_,"axG",@progbits,_Z21sort_keys_values_fullILj512ELj64ELj1ELb0EsiN10test_utils4lessEEvPT3_PT4_T5_,comdat
.Lfunc_end40:
	.size	_Z21sort_keys_values_fullILj512ELj64ELj1ELb0EsiN10test_utils4lessEEvPT3_PT4_T5_, .Lfunc_end40-_Z21sort_keys_values_fullILj512ELj64ELj1ELb0EsiN10test_utils4lessEEvPT3_PT4_T5_
                                        ; -- End function
	.set _Z21sort_keys_values_fullILj512ELj64ELj1ELb0EsiN10test_utils4lessEEvPT3_PT4_T5_.num_vgpr, 21
	.set _Z21sort_keys_values_fullILj512ELj64ELj1ELb0EsiN10test_utils4lessEEvPT3_PT4_T5_.num_agpr, 0
	.set _Z21sort_keys_values_fullILj512ELj64ELj1ELb0EsiN10test_utils4lessEEvPT3_PT4_T5_.numbered_sgpr, 8
	.set _Z21sort_keys_values_fullILj512ELj64ELj1ELb0EsiN10test_utils4lessEEvPT3_PT4_T5_.num_named_barrier, 0
	.set _Z21sort_keys_values_fullILj512ELj64ELj1ELb0EsiN10test_utils4lessEEvPT3_PT4_T5_.private_seg_size, 0
	.set _Z21sort_keys_values_fullILj512ELj64ELj1ELb0EsiN10test_utils4lessEEvPT3_PT4_T5_.uses_vcc, 1
	.set _Z21sort_keys_values_fullILj512ELj64ELj1ELb0EsiN10test_utils4lessEEvPT3_PT4_T5_.uses_flat_scratch, 0
	.set _Z21sort_keys_values_fullILj512ELj64ELj1ELb0EsiN10test_utils4lessEEvPT3_PT4_T5_.has_dyn_sized_stack, 0
	.set _Z21sort_keys_values_fullILj512ELj64ELj1ELb0EsiN10test_utils4lessEEvPT3_PT4_T5_.has_recursion, 0
	.set _Z21sort_keys_values_fullILj512ELj64ELj1ELb0EsiN10test_utils4lessEEvPT3_PT4_T5_.has_indirect_call, 0
	.section	.AMDGPU.csdata,"",@progbits
; Kernel info:
; codeLenInByte = 1984
; TotalNumSgprs: 12
; NumVgprs: 21
; ScratchSize: 0
; MemoryBound: 0
; FloatMode: 240
; IeeeMode: 1
; LDSByteSize: 2080 bytes/workgroup (compile time only)
; SGPRBlocks: 1
; VGPRBlocks: 5
; NumSGPRsForWavesPerEU: 12
; NumVGPRsForWavesPerEU: 21
; Occupancy: 10
; WaveLimiterHint : 0
; COMPUTE_PGM_RSRC2:SCRATCH_EN: 0
; COMPUTE_PGM_RSRC2:USER_SGPR: 6
; COMPUTE_PGM_RSRC2:TRAP_HANDLER: 0
; COMPUTE_PGM_RSRC2:TGID_X_EN: 1
; COMPUTE_PGM_RSRC2:TGID_Y_EN: 0
; COMPUTE_PGM_RSRC2:TGID_Z_EN: 0
; COMPUTE_PGM_RSRC2:TIDIG_COMP_CNT: 0
	.section	.text._Z21sort_keys_values_fullILj32ELj32ELj1ELb0EdiN10test_utils4lessEEvPT3_PT4_T5_,"axG",@progbits,_Z21sort_keys_values_fullILj32ELj32ELj1ELb0EdiN10test_utils4lessEEvPT3_PT4_T5_,comdat
	.protected	_Z21sort_keys_values_fullILj32ELj32ELj1ELb0EdiN10test_utils4lessEEvPT3_PT4_T5_ ; -- Begin function _Z21sort_keys_values_fullILj32ELj32ELj1ELb0EdiN10test_utils4lessEEvPT3_PT4_T5_
	.globl	_Z21sort_keys_values_fullILj32ELj32ELj1ELb0EdiN10test_utils4lessEEvPT3_PT4_T5_
	.p2align	8
	.type	_Z21sort_keys_values_fullILj32ELj32ELj1ELb0EdiN10test_utils4lessEEvPT3_PT4_T5_,@function
_Z21sort_keys_values_fullILj32ELj32ELj1ELb0EdiN10test_utils4lessEEvPT3_PT4_T5_: ; @_Z21sort_keys_values_fullILj32ELj32ELj1ELb0EdiN10test_utils4lessEEvPT3_PT4_T5_
; %bb.0:
	s_load_dwordx4 s[0:3], s[4:5], 0x0
	s_lshl_b32 s4, s6, 5
	s_mov_b32 s5, 0
	s_lshl_b64 s[6:7], s[4:5], 3
	v_lshlrev_b32_e32 v1, 3, v0
	s_waitcnt lgkmcnt(0)
	s_add_u32 s0, s0, s6
	s_addc_u32 s1, s1, s7
	s_lshl_b64 s[4:5], s[4:5], 2
	global_load_dwordx2 v[13:14], v1, s[0:1]
	s_add_u32 s2, s2, s4
	s_addc_u32 s3, s3, s5
	v_lshlrev_b32_e32 v2, 2, v0
	global_load_dword v7, v2, s[2:3]
	v_mbcnt_lo_u32_b32 v0, -1, 0
	v_mbcnt_hi_u32_b32 v6, -1, v0
	v_and_b32_e32 v10, 30, v6
	v_mov_b32_e32 v3, s1
	v_add_co_u32_e32 v0, vcc, s0, v1
	v_and_b32_e32 v4, 31, v6
	v_or_b32_e32 v9, 1, v10
	v_addc_co_u32_e32 v1, vcc, 0, v3, vcc
	v_and_b32_e32 v11, 1, v6
	v_lshlrev_b32_e32 v5, 3, v4
	v_sub_u32_e32 v15, v9, v10
	v_mov_b32_e32 v3, s3
	v_add_co_u32_e32 v2, vcc, s2, v2
	; wave barrier
	v_addc_co_u32_e32 v3, vcc, 0, v3, vcc
	v_mov_b32_e32 v8, 0
	v_lshlrev_b32_e32 v12, 3, v10
	s_waitcnt vmcnt(1)
	ds_write_b64 v5, v[13:14]
	v_min_i32_e32 v13, v11, v15
	v_cmp_lt_i32_e32 vcc, 0, v13
	; wave barrier
	s_and_saveexec_b64 s[0:1], vcc
	s_cbranch_execz .LBB41_4
; %bb.1:
	v_lshl_add_u32 v13, v11, 3, v12
	v_mov_b32_e32 v14, 1
	s_mov_b64 s[2:3], 0
.LBB41_2:                               ; =>This Inner Loop Header: Depth=1
	v_sub_u32_e32 v15, v14, v8
	v_lshrrev_b32_e32 v15, 1, v15
	v_add_u32_e32 v19, v15, v8
	v_not_b32_e32 v16, v19
	v_lshl_add_u32 v15, v19, 3, v12
	v_lshl_add_u32 v17, v16, 3, v13
	ds_read_b64 v[15:16], v15
	ds_read_b64 v[17:18], v17 offset:8
	s_waitcnt lgkmcnt(0)
	v_cmp_lt_f64_e32 vcc, v[17:18], v[15:16]
	v_add_u32_e32 v15, 1, v19
	v_cndmask_b32_e32 v14, v14, v19, vcc
	v_cndmask_b32_e32 v8, v15, v8, vcc
	v_cmp_ge_i32_e32 vcc, v8, v14
	s_or_b64 s[2:3], vcc, s[2:3]
	s_andn2_b64 exec, exec, s[2:3]
	s_cbranch_execnz .LBB41_2
; %bb.3:
	s_or_b64 exec, exec, s[2:3]
.LBB41_4:
	s_or_b64 exec, exec, s[0:1]
	v_add_u32_e32 v13, v10, v11
	v_sub_u32_e32 v13, v13, v8
	v_lshl_add_u32 v12, v8, 3, v12
	v_lshlrev_b32_e32 v14, 3, v13
	ds_read_b64 v[12:13], v12
	ds_read_b64 v[14:15], v14 offset:8
	v_add_u32_e32 v16, v8, v10
	v_add_u32_e32 v10, v9, v11
	v_cmp_lt_i32_e64 s[0:1], 0, v8
	v_sub_u32_e32 v8, v10, v8
	s_waitcnt lgkmcnt(0)
	v_cmp_lt_f64_e32 vcc, v[14:15], v[12:13]
	v_cmp_ge_i32_e64 s[2:3], v9, v8
	; wave barrier
	s_or_b64 s[0:1], s[0:1], vcc
	s_and_b64 vcc, s[2:3], s[0:1]
	v_cndmask_b32_e32 v9, v12, v14, vcc
	v_lshlrev_b32_e32 v12, 2, v4
	v_cndmask_b32_e32 v8, v16, v8, vcc
	v_sub_u32_e32 v11, v5, v12
	s_waitcnt vmcnt(0)
	ds_write_b32 v11, v7
	v_lshlrev_b32_e32 v7, 2, v8
	v_cndmask_b32_e32 v10, v13, v15, vcc
	; wave barrier
	ds_read_b32 v8, v7
	v_and_b32_e32 v7, 28, v6
	; wave barrier
	ds_write_b64 v5, v[9:10]
	v_or_b32_e32 v10, 2, v7
	v_and_b32_e32 v9, 3, v6
	v_sub_u32_e32 v14, v10, v7
	v_sub_u32_e64 v11, v9, 2 clamp
	v_min_i32_e32 v14, v9, v14
	v_lshlrev_b32_e32 v13, 3, v7
	v_cmp_lt_i32_e32 vcc, v11, v14
	; wave barrier
	s_and_saveexec_b64 s[0:1], vcc
	s_cbranch_execz .LBB41_8
; %bb.5:
	v_lshl_add_u32 v15, v9, 3, v13
	s_mov_b64 s[2:3], 0
.LBB41_6:                               ; =>This Inner Loop Header: Depth=1
	v_sub_u32_e32 v16, v14, v11
	v_lshrrev_b32_e32 v16, 1, v16
	v_add_u32_e32 v20, v16, v11
	v_not_b32_e32 v17, v20
	v_lshl_add_u32 v16, v20, 3, v13
	v_lshl_add_u32 v18, v17, 3, v15
	ds_read_b64 v[16:17], v16
	ds_read_b64 v[18:19], v18 offset:16
	s_waitcnt lgkmcnt(0)
	v_cmp_lt_f64_e32 vcc, v[18:19], v[16:17]
	v_add_u32_e32 v16, 1, v20
	v_cndmask_b32_e32 v14, v14, v20, vcc
	v_cndmask_b32_e32 v11, v16, v11, vcc
	v_cmp_ge_i32_e32 vcc, v11, v14
	s_or_b64 s[2:3], vcc, s[2:3]
	s_andn2_b64 exec, exec, s[2:3]
	s_cbranch_execnz .LBB41_6
; %bb.7:
	s_or_b64 exec, exec, s[2:3]
.LBB41_8:
	s_or_b64 exec, exec, s[0:1]
	v_add_u32_e32 v14, v7, v9
	v_sub_u32_e32 v14, v14, v11
	v_lshl_add_u32 v13, v11, 3, v13
	v_lshlrev_b32_e32 v15, 3, v14
	ds_read_b64 v[13:14], v13
	ds_read_b64 v[15:16], v15 offset:16
	v_add_u32_e32 v9, v10, v9
	v_add_u32_e32 v17, 4, v7
	v_add_u32_e32 v7, v11, v7
	v_cmp_lt_i32_e64 s[0:1], 1, v11
	s_waitcnt lgkmcnt(0)
	v_cmp_lt_f64_e32 vcc, v[15:16], v[13:14]
	v_sub_u32_e32 v11, v9, v11
	v_cmp_gt_i32_e64 s[2:3], v17, v11
	v_sub_u32_e32 v12, 0, v12
	; wave barrier
	s_or_b64 s[0:1], s[0:1], vcc
	s_and_b64 vcc, s[2:3], s[0:1]
	v_cndmask_b32_e32 v11, v7, v11, vcc
	v_add_u32_e32 v7, v5, v12
	v_cndmask_b32_e32 v10, v14, v16, vcc
	v_cndmask_b32_e32 v9, v13, v15, vcc
	ds_write_b32 v7, v8
	v_lshlrev_b32_e32 v8, 2, v11
	; wave barrier
	ds_read_b32 v8, v8
	; wave barrier
	ds_write_b64 v5, v[9:10]
	v_and_b32_e32 v9, 24, v6
	v_or_b32_e32 v11, 4, v9
	v_and_b32_e32 v10, 7, v6
	v_sub_u32_e32 v14, v11, v9
	v_sub_u32_e64 v12, v10, 4 clamp
	v_min_i32_e32 v14, v10, v14
	v_lshlrev_b32_e32 v13, 3, v9
	v_cmp_lt_i32_e32 vcc, v12, v14
	; wave barrier
	s_and_saveexec_b64 s[0:1], vcc
	s_cbranch_execz .LBB41_12
; %bb.9:
	v_lshl_add_u32 v15, v10, 3, v13
	s_mov_b64 s[2:3], 0
.LBB41_10:                              ; =>This Inner Loop Header: Depth=1
	v_sub_u32_e32 v16, v14, v12
	v_lshrrev_b32_e32 v16, 1, v16
	v_add_u32_e32 v20, v16, v12
	v_not_b32_e32 v17, v20
	v_lshl_add_u32 v16, v20, 3, v13
	v_lshl_add_u32 v18, v17, 3, v15
	ds_read_b64 v[16:17], v16
	ds_read_b64 v[18:19], v18 offset:32
	s_waitcnt lgkmcnt(0)
	v_cmp_lt_f64_e32 vcc, v[18:19], v[16:17]
	v_add_u32_e32 v16, 1, v20
	v_cndmask_b32_e32 v14, v14, v20, vcc
	v_cndmask_b32_e32 v12, v16, v12, vcc
	v_cmp_ge_i32_e32 vcc, v12, v14
	s_or_b64 s[2:3], vcc, s[2:3]
	s_andn2_b64 exec, exec, s[2:3]
	s_cbranch_execnz .LBB41_10
; %bb.11:
	s_or_b64 exec, exec, s[2:3]
.LBB41_12:
	s_or_b64 exec, exec, s[0:1]
	v_add_u32_e32 v14, v9, v10
	v_sub_u32_e32 v14, v14, v12
	v_lshl_add_u32 v13, v12, 3, v13
	v_lshlrev_b32_e32 v15, 3, v14
	ds_read_b64 v[13:14], v13
	ds_read_b64 v[15:16], v15 offset:32
	v_add_u32_e32 v17, 8, v9
	v_add_u32_e32 v18, v12, v9
	;; [unrolled: 1-line block ×3, first 2 shown]
	v_cmp_lt_i32_e64 s[0:1], 3, v12
	s_waitcnt lgkmcnt(0)
	v_cmp_lt_f64_e32 vcc, v[15:16], v[13:14]
	v_sub_u32_e32 v11, v9, v12
	v_cmp_gt_i32_e64 s[2:3], v17, v11
	; wave barrier
	ds_write_b32 v7, v8
	; wave barrier
	s_or_b64 s[0:1], s[0:1], vcc
	s_and_b64 vcc, s[2:3], s[0:1]
	v_cndmask_b32_e32 v11, v18, v11, vcc
	v_cndmask_b32_e32 v10, v14, v16, vcc
	;; [unrolled: 1-line block ×3, first 2 shown]
	v_lshlrev_b32_e32 v8, 2, v11
	ds_read_b32 v8, v8
	; wave barrier
	ds_write_b64 v5, v[9:10]
	v_and_b32_e32 v9, 16, v6
	v_or_b32_e32 v10, 8, v9
	v_and_b32_e32 v6, 15, v6
	v_sub_u32_e32 v13, v10, v9
	v_sub_u32_e64 v11, v6, 8 clamp
	v_min_i32_e32 v13, v6, v13
	v_lshlrev_b32_e32 v12, 3, v9
	v_cmp_lt_i32_e32 vcc, v11, v13
	; wave barrier
	s_and_saveexec_b64 s[0:1], vcc
	s_cbranch_execz .LBB41_16
; %bb.13:
	v_lshl_add_u32 v14, v6, 3, v12
	s_mov_b64 s[2:3], 0
.LBB41_14:                              ; =>This Inner Loop Header: Depth=1
	v_sub_u32_e32 v15, v13, v11
	v_lshrrev_b32_e32 v15, 1, v15
	v_add_u32_e32 v19, v15, v11
	v_not_b32_e32 v16, v19
	v_lshl_add_u32 v15, v19, 3, v12
	v_lshl_add_u32 v17, v16, 3, v14
	ds_read_b64 v[15:16], v15
	ds_read_b64 v[17:18], v17 offset:64
	s_waitcnt lgkmcnt(0)
	v_cmp_lt_f64_e32 vcc, v[17:18], v[15:16]
	v_add_u32_e32 v15, 1, v19
	v_cndmask_b32_e32 v13, v13, v19, vcc
	v_cndmask_b32_e32 v11, v15, v11, vcc
	v_cmp_ge_i32_e32 vcc, v11, v13
	s_or_b64 s[2:3], vcc, s[2:3]
	s_andn2_b64 exec, exec, s[2:3]
	s_cbranch_execnz .LBB41_14
; %bb.15:
	s_or_b64 exec, exec, s[2:3]
.LBB41_16:
	s_or_b64 exec, exec, s[0:1]
	v_add_u32_e32 v13, v9, v6
	v_sub_u32_e32 v13, v13, v11
	v_lshl_add_u32 v12, v11, 3, v12
	v_lshlrev_b32_e32 v14, 3, v13
	ds_read_b64 v[12:13], v12
	ds_read_b64 v[14:15], v14 offset:64
	v_add_u32_e32 v6, v10, v6
	v_add_u32_e32 v16, 16, v9
	v_cmp_lt_i32_e64 s[0:1], 7, v11
	v_sub_u32_e32 v6, v6, v11
	s_waitcnt lgkmcnt(0)
	v_cmp_lt_f64_e32 vcc, v[14:15], v[12:13]
	v_cmp_gt_i32_e64 s[2:3], v16, v6
	v_add_u32_e32 v17, v11, v9
	; wave barrier
	ds_write_b32 v7, v8
	; wave barrier
	s_or_b64 s[0:1], s[0:1], vcc
	s_and_b64 vcc, s[2:3], s[0:1]
	v_cndmask_b32_e32 v6, v17, v6, vcc
	v_lshlrev_b32_e32 v6, 2, v6
	ds_read_b32 v6, v6
	v_cndmask_b32_e32 v10, v13, v15, vcc
	v_cndmask_b32_e32 v9, v12, v14, vcc
	; wave barrier
	ds_write_b64 v5, v[9:10]
	v_sub_u32_e64 v8, v4, 16 clamp
	v_min_u32_e32 v9, 16, v4
	v_cmp_lt_u32_e32 vcc, v8, v9
	; wave barrier
	s_and_saveexec_b64 s[0:1], vcc
	s_cbranch_execz .LBB41_20
; %bb.17:
	s_mov_b64 s[2:3], 0
.LBB41_18:                              ; =>This Inner Loop Header: Depth=1
	v_sub_u32_e32 v10, v9, v8
	v_lshrrev_b32_e32 v10, 1, v10
	v_add_u32_e32 v14, v10, v8
	v_not_b32_e32 v11, v14
	v_lshlrev_b32_e32 v10, 3, v14
	v_lshl_add_u32 v12, v11, 3, v5
	ds_read_b64 v[10:11], v10
	ds_read_b64 v[12:13], v12 offset:128
	s_waitcnt lgkmcnt(0)
	v_cmp_lt_f64_e32 vcc, v[12:13], v[10:11]
	v_add_u32_e32 v10, 1, v14
	v_cndmask_b32_e32 v9, v9, v14, vcc
	v_cndmask_b32_e32 v8, v10, v8, vcc
	v_cmp_ge_i32_e32 vcc, v8, v9
	s_or_b64 s[2:3], vcc, s[2:3]
	s_andn2_b64 exec, exec, s[2:3]
	s_cbranch_execnz .LBB41_18
; %bb.19:
	s_or_b64 exec, exec, s[2:3]
.LBB41_20:
	s_or_b64 exec, exec, s[0:1]
	v_sub_u32_e32 v11, v4, v8
	v_lshlrev_b32_e32 v4, 3, v8
	v_lshlrev_b32_e32 v9, 3, v11
	ds_read_b64 v[4:5], v4
	ds_read_b64 v[9:10], v9 offset:128
	v_cmp_lt_i32_e64 s[0:1], 15, v8
	v_add_u32_e32 v11, 16, v11
	v_cmp_gt_i32_e64 s[2:3], 32, v11
	s_waitcnt lgkmcnt(0)
	v_cmp_lt_f64_e32 vcc, v[9:10], v[4:5]
	; wave barrier
	ds_write_b32 v7, v6
	; wave barrier
	s_or_b64 s[0:1], s[0:1], vcc
	s_and_b64 vcc, s[2:3], s[0:1]
	v_cndmask_b32_e32 v6, v8, v11, vcc
	v_lshlrev_b32_e32 v6, 2, v6
	ds_read_b32 v6, v6
	v_cndmask_b32_e32 v5, v5, v10, vcc
	v_cndmask_b32_e32 v4, v4, v9, vcc
	global_store_dwordx2 v[0:1], v[4:5], off
	s_waitcnt lgkmcnt(0)
	global_store_dword v[2:3], v6, off
	s_endpgm
	.section	.rodata,"a",@progbits
	.p2align	6, 0x0
	.amdhsa_kernel _Z21sort_keys_values_fullILj32ELj32ELj1ELb0EdiN10test_utils4lessEEvPT3_PT4_T5_
		.amdhsa_group_segment_fixed_size 264
		.amdhsa_private_segment_fixed_size 0
		.amdhsa_kernarg_size 20
		.amdhsa_user_sgpr_count 6
		.amdhsa_user_sgpr_private_segment_buffer 1
		.amdhsa_user_sgpr_dispatch_ptr 0
		.amdhsa_user_sgpr_queue_ptr 0
		.amdhsa_user_sgpr_kernarg_segment_ptr 1
		.amdhsa_user_sgpr_dispatch_id 0
		.amdhsa_user_sgpr_flat_scratch_init 0
		.amdhsa_user_sgpr_private_segment_size 0
		.amdhsa_uses_dynamic_stack 0
		.amdhsa_system_sgpr_private_segment_wavefront_offset 0
		.amdhsa_system_sgpr_workgroup_id_x 1
		.amdhsa_system_sgpr_workgroup_id_y 0
		.amdhsa_system_sgpr_workgroup_id_z 0
		.amdhsa_system_sgpr_workgroup_info 0
		.amdhsa_system_vgpr_workitem_id 0
		.amdhsa_next_free_vgpr 21
		.amdhsa_next_free_sgpr 8
		.amdhsa_reserve_vcc 1
		.amdhsa_reserve_flat_scratch 0
		.amdhsa_float_round_mode_32 0
		.amdhsa_float_round_mode_16_64 0
		.amdhsa_float_denorm_mode_32 3
		.amdhsa_float_denorm_mode_16_64 3
		.amdhsa_dx10_clamp 1
		.amdhsa_ieee_mode 1
		.amdhsa_fp16_overflow 0
		.amdhsa_exception_fp_ieee_invalid_op 0
		.amdhsa_exception_fp_denorm_src 0
		.amdhsa_exception_fp_ieee_div_zero 0
		.amdhsa_exception_fp_ieee_overflow 0
		.amdhsa_exception_fp_ieee_underflow 0
		.amdhsa_exception_fp_ieee_inexact 0
		.amdhsa_exception_int_div_zero 0
	.end_amdhsa_kernel
	.section	.text._Z21sort_keys_values_fullILj32ELj32ELj1ELb0EdiN10test_utils4lessEEvPT3_PT4_T5_,"axG",@progbits,_Z21sort_keys_values_fullILj32ELj32ELj1ELb0EdiN10test_utils4lessEEvPT3_PT4_T5_,comdat
.Lfunc_end41:
	.size	_Z21sort_keys_values_fullILj32ELj32ELj1ELb0EdiN10test_utils4lessEEvPT3_PT4_T5_, .Lfunc_end41-_Z21sort_keys_values_fullILj32ELj32ELj1ELb0EdiN10test_utils4lessEEvPT3_PT4_T5_
                                        ; -- End function
	.set _Z21sort_keys_values_fullILj32ELj32ELj1ELb0EdiN10test_utils4lessEEvPT3_PT4_T5_.num_vgpr, 21
	.set _Z21sort_keys_values_fullILj32ELj32ELj1ELb0EdiN10test_utils4lessEEvPT3_PT4_T5_.num_agpr, 0
	.set _Z21sort_keys_values_fullILj32ELj32ELj1ELb0EdiN10test_utils4lessEEvPT3_PT4_T5_.numbered_sgpr, 8
	.set _Z21sort_keys_values_fullILj32ELj32ELj1ELb0EdiN10test_utils4lessEEvPT3_PT4_T5_.num_named_barrier, 0
	.set _Z21sort_keys_values_fullILj32ELj32ELj1ELb0EdiN10test_utils4lessEEvPT3_PT4_T5_.private_seg_size, 0
	.set _Z21sort_keys_values_fullILj32ELj32ELj1ELb0EdiN10test_utils4lessEEvPT3_PT4_T5_.uses_vcc, 1
	.set _Z21sort_keys_values_fullILj32ELj32ELj1ELb0EdiN10test_utils4lessEEvPT3_PT4_T5_.uses_flat_scratch, 0
	.set _Z21sort_keys_values_fullILj32ELj32ELj1ELb0EdiN10test_utils4lessEEvPT3_PT4_T5_.has_dyn_sized_stack, 0
	.set _Z21sort_keys_values_fullILj32ELj32ELj1ELb0EdiN10test_utils4lessEEvPT3_PT4_T5_.has_recursion, 0
	.set _Z21sort_keys_values_fullILj32ELj32ELj1ELb0EdiN10test_utils4lessEEvPT3_PT4_T5_.has_indirect_call, 0
	.section	.AMDGPU.csdata,"",@progbits
; Kernel info:
; codeLenInByte = 1468
; TotalNumSgprs: 12
; NumVgprs: 21
; ScratchSize: 0
; MemoryBound: 0
; FloatMode: 240
; IeeeMode: 1
; LDSByteSize: 264 bytes/workgroup (compile time only)
; SGPRBlocks: 1
; VGPRBlocks: 5
; NumSGPRsForWavesPerEU: 12
; NumVGPRsForWavesPerEU: 21
; Occupancy: 10
; WaveLimiterHint : 0
; COMPUTE_PGM_RSRC2:SCRATCH_EN: 0
; COMPUTE_PGM_RSRC2:USER_SGPR: 6
; COMPUTE_PGM_RSRC2:TRAP_HANDLER: 0
; COMPUTE_PGM_RSRC2:TGID_X_EN: 1
; COMPUTE_PGM_RSRC2:TGID_Y_EN: 0
; COMPUTE_PGM_RSRC2:TGID_Z_EN: 0
; COMPUTE_PGM_RSRC2:TIDIG_COMP_CNT: 0
	.section	.text._Z21sort_keys_values_fullILj64ELj16ELj1ELb0EfcN10test_utils4lessEEvPT3_PT4_T5_,"axG",@progbits,_Z21sort_keys_values_fullILj64ELj16ELj1ELb0EfcN10test_utils4lessEEvPT3_PT4_T5_,comdat
	.protected	_Z21sort_keys_values_fullILj64ELj16ELj1ELb0EfcN10test_utils4lessEEvPT3_PT4_T5_ ; -- Begin function _Z21sort_keys_values_fullILj64ELj16ELj1ELb0EfcN10test_utils4lessEEvPT3_PT4_T5_
	.globl	_Z21sort_keys_values_fullILj64ELj16ELj1ELb0EfcN10test_utils4lessEEvPT3_PT4_T5_
	.p2align	8
	.type	_Z21sort_keys_values_fullILj64ELj16ELj1ELb0EfcN10test_utils4lessEEvPT3_PT4_T5_,@function
_Z21sort_keys_values_fullILj64ELj16ELj1ELb0EfcN10test_utils4lessEEvPT3_PT4_T5_: ; @_Z21sort_keys_values_fullILj64ELj16ELj1ELb0EfcN10test_utils4lessEEvPT3_PT4_T5_
; %bb.0:
	s_load_dwordx4 s[0:3], s[4:5], 0x0
	s_lshl_b32 s4, s6, 6
	s_mov_b32 s5, 0
	s_lshl_b64 s[6:7], s[4:5], 2
	v_lshlrev_b32_e32 v1, 2, v0
	s_waitcnt lgkmcnt(0)
	s_add_u32 s0, s0, s6
	s_addc_u32 s1, s1, s7
	s_add_u32 s2, s2, s4
	s_addc_u32 s3, s3, 0
	global_load_dword v15, v1, s[0:1]
	global_load_ubyte v9, v0, s[2:3]
	v_mbcnt_lo_u32_b32 v2, -1, 0
	v_mbcnt_hi_u32_b32 v8, -1, v2
	v_and_b32_e32 v5, 15, v8
	s_movk_i32 s4, 0x44
	v_lshrrev_b32_e32 v12, 4, v0
	v_lshlrev_b32_e32 v2, 2, v5
	v_and_b32_e32 v13, 14, v8
	v_mad_u32_u24 v6, v12, s4, v2
	v_mov_b32_e32 v2, s1
	v_add_co_u32_e32 v1, vcc, s0, v1
	v_or_b32_e32 v11, 1, v13
	v_lshlrev_b32_e32 v3, 2, v13
	v_addc_co_u32_e32 v2, vcc, 0, v2, vcc
	v_and_b32_e32 v10, 1, v8
	v_sub_u32_e32 v16, v11, v13
	v_mad_u32_u24 v14, v12, s4, v3
	v_mov_b32_e32 v4, s3
	v_add_co_u32_e32 v3, vcc, s2, v0
	v_addc_co_u32_e32 v4, vcc, 0, v4, vcc
	v_min_i32_e32 v0, v10, v16
	v_mov_b32_e32 v7, 0
	v_cmp_lt_i32_e32 vcc, 0, v0
	; wave barrier
	s_waitcnt vmcnt(1)
	ds_write_b32 v6, v15
	; wave barrier
	s_and_saveexec_b64 s[0:1], vcc
	s_cbranch_execz .LBB42_4
; %bb.1:
	v_lshl_add_u32 v0, v10, 2, v14
	v_mov_b32_e32 v15, 1
	v_mov_b32_e32 v7, 0
	s_mov_b64 s[2:3], 0
.LBB42_2:                               ; =>This Inner Loop Header: Depth=1
	v_sub_u32_e32 v16, v15, v7
	v_lshrrev_b32_e32 v16, 1, v16
	v_add_u32_e32 v16, v16, v7
	v_not_b32_e32 v18, v16
	v_lshl_add_u32 v17, v16, 2, v14
	v_lshl_add_u32 v18, v18, 2, v0
	ds_read_b32 v17, v17
	ds_read_b32 v18, v18 offset:4
	v_add_u32_e32 v19, 1, v16
	s_waitcnt lgkmcnt(0)
	v_cmp_lt_f32_e32 vcc, v18, v17
	v_cndmask_b32_e32 v15, v15, v16, vcc
	v_cndmask_b32_e32 v7, v19, v7, vcc
	v_cmp_ge_i32_e32 vcc, v7, v15
	s_or_b64 s[2:3], vcc, s[2:3]
	s_andn2_b64 exec, exec, s[2:3]
	s_cbranch_execnz .LBB42_2
; %bb.3:
	s_or_b64 exec, exec, s[2:3]
.LBB42_4:
	s_or_b64 exec, exec, s[0:1]
	v_mul_u32_u24_e32 v0, 0x44, v12
	v_add_u32_e32 v12, v7, v13
	v_add_u32_e32 v13, v13, v10
	v_sub_u32_e32 v13, v13, v7
	v_lshl_add_u32 v14, v7, 2, v14
	v_lshl_add_u32 v13, v13, 2, v0
	ds_read_b32 v14, v14
	ds_read_b32 v13, v13 offset:4
	v_add_u32_e32 v10, v11, v10
	v_sub_u32_e32 v10, v10, v7
	v_cmp_lt_i32_e64 s[0:1], 0, v7
	v_cmp_ge_i32_e32 vcc, v11, v10
	s_waitcnt lgkmcnt(0)
	v_cmp_lt_f32_e64 s[2:3], v13, v14
	s_or_b64 s[0:1], s[0:1], s[2:3]
	s_and_b64 vcc, vcc, s[0:1]
	v_cndmask_b32_e32 v10, v12, v10, vcc
	v_add_u32_e32 v7, v0, v5
	; wave barrier
	s_waitcnt vmcnt(0)
	ds_write_b8 v7, v9
	v_add_u32_e32 v9, v0, v10
	v_cndmask_b32_e32 v11, v14, v13, vcc
	; wave barrier
	ds_read_u8 v9, v9
	v_and_b32_e32 v13, 12, v8
	; wave barrier
	ds_write_b32 v6, v11
	v_or_b32_e32 v11, 2, v13
	v_and_b32_e32 v10, 3, v8
	v_sub_u32_e32 v15, v11, v13
	v_sub_u32_e64 v12, v10, 2 clamp
	v_min_i32_e32 v15, v10, v15
	v_lshl_add_u32 v14, v13, 2, v0
	v_cmp_lt_i32_e32 vcc, v12, v15
	; wave barrier
	s_and_saveexec_b64 s[0:1], vcc
	s_cbranch_execz .LBB42_8
; %bb.5:
	v_lshl_add_u32 v16, v10, 2, v14
	s_mov_b64 s[2:3], 0
.LBB42_6:                               ; =>This Inner Loop Header: Depth=1
	v_sub_u32_e32 v17, v15, v12
	v_lshrrev_b32_e32 v17, 1, v17
	v_add_u32_e32 v17, v17, v12
	v_not_b32_e32 v19, v17
	v_lshl_add_u32 v18, v17, 2, v14
	v_lshl_add_u32 v19, v19, 2, v16
	ds_read_b32 v18, v18
	ds_read_b32 v19, v19 offset:8
	v_add_u32_e32 v20, 1, v17
	s_waitcnt lgkmcnt(0)
	v_cmp_lt_f32_e32 vcc, v19, v18
	v_cndmask_b32_e32 v15, v15, v17, vcc
	v_cndmask_b32_e32 v12, v20, v12, vcc
	v_cmp_ge_i32_e32 vcc, v12, v15
	s_or_b64 s[2:3], vcc, s[2:3]
	s_andn2_b64 exec, exec, s[2:3]
	s_cbranch_execnz .LBB42_6
; %bb.7:
	s_or_b64 exec, exec, s[2:3]
.LBB42_8:
	s_or_b64 exec, exec, s[0:1]
	v_add_u32_e32 v15, 4, v13
	v_add_u32_e32 v16, v12, v13
	;; [unrolled: 1-line block ×3, first 2 shown]
	v_sub_u32_e32 v13, v13, v12
	v_lshl_add_u32 v14, v12, 2, v14
	v_lshl_add_u32 v13, v13, 2, v0
	ds_read_b32 v14, v14
	ds_read_b32 v13, v13 offset:8
	v_add_u32_e32 v10, v11, v10
	v_sub_u32_e32 v10, v10, v12
	v_cmp_lt_i32_e64 s[0:1], 1, v12
	v_cmp_gt_i32_e32 vcc, v15, v10
	s_waitcnt lgkmcnt(0)
	v_cmp_lt_f32_e64 s[2:3], v13, v14
	s_or_b64 s[0:1], s[0:1], s[2:3]
	s_and_b64 vcc, vcc, s[0:1]
	v_cndmask_b32_e32 v10, v16, v10, vcc
	; wave barrier
	ds_write_b8 v7, v9
	v_add_u32_e32 v9, v0, v10
	; wave barrier
	ds_read_u8 v9, v9
	v_and_b32_e32 v12, 8, v8
	v_or_b32_e32 v10, 4, v12
	v_cndmask_b32_e32 v11, v14, v13, vcc
	v_and_b32_e32 v8, 7, v8
	v_sub_u32_e32 v14, v10, v12
	; wave barrier
	ds_write_b32 v6, v11
	v_sub_u32_e64 v11, v8, 4 clamp
	v_min_i32_e32 v14, v8, v14
	v_lshl_add_u32 v13, v12, 2, v0
	v_cmp_lt_i32_e32 vcc, v11, v14
	; wave barrier
	s_and_saveexec_b64 s[0:1], vcc
	s_cbranch_execz .LBB42_12
; %bb.9:
	v_lshl_add_u32 v15, v8, 2, v13
	s_mov_b64 s[2:3], 0
.LBB42_10:                              ; =>This Inner Loop Header: Depth=1
	v_sub_u32_e32 v16, v14, v11
	v_lshrrev_b32_e32 v16, 1, v16
	v_add_u32_e32 v16, v16, v11
	v_not_b32_e32 v18, v16
	v_lshl_add_u32 v17, v16, 2, v13
	v_lshl_add_u32 v18, v18, 2, v15
	ds_read_b32 v17, v17
	ds_read_b32 v18, v18 offset:16
	v_add_u32_e32 v19, 1, v16
	s_waitcnt lgkmcnt(0)
	v_cmp_lt_f32_e32 vcc, v18, v17
	v_cndmask_b32_e32 v14, v14, v16, vcc
	v_cndmask_b32_e32 v11, v19, v11, vcc
	v_cmp_ge_i32_e32 vcc, v11, v14
	s_or_b64 s[2:3], vcc, s[2:3]
	s_andn2_b64 exec, exec, s[2:3]
	s_cbranch_execnz .LBB42_10
; %bb.11:
	s_or_b64 exec, exec, s[2:3]
.LBB42_12:
	s_or_b64 exec, exec, s[0:1]
	v_add_u32_e32 v14, 8, v12
	v_add_u32_e32 v15, v11, v12
	;; [unrolled: 1-line block ×3, first 2 shown]
	v_sub_u32_e32 v12, v12, v11
	v_lshl_add_u32 v13, v11, 2, v13
	v_lshl_add_u32 v12, v12, 2, v0
	ds_read_b32 v13, v13
	ds_read_b32 v12, v12 offset:16
	v_add_u32_e32 v8, v10, v8
	v_sub_u32_e32 v8, v8, v11
	v_cmp_lt_i32_e64 s[0:1], 3, v11
	v_cmp_gt_i32_e32 vcc, v14, v8
	s_waitcnt lgkmcnt(0)
	v_cmp_lt_f32_e64 s[2:3], v12, v13
	s_or_b64 s[0:1], s[0:1], s[2:3]
	s_and_b64 vcc, vcc, s[0:1]
	v_cndmask_b32_e32 v8, v15, v8, vcc
	v_add_u32_e32 v8, v0, v8
	; wave barrier
	ds_write_b8 v7, v9
	; wave barrier
	ds_read_u8 v8, v8
	v_cndmask_b32_e32 v10, v13, v12, vcc
	; wave barrier
	ds_write_b32 v6, v10
	v_sub_u32_e64 v6, v5, 8 clamp
	v_min_u32_e32 v9, 8, v5
	v_cmp_lt_u32_e32 vcc, v6, v9
	; wave barrier
	s_and_saveexec_b64 s[0:1], vcc
	s_cbranch_execz .LBB42_16
; %bb.13:
	v_mad_u32_u24 v10, v5, 3, v7
	s_mov_b64 s[2:3], 0
.LBB42_14:                              ; =>This Inner Loop Header: Depth=1
	v_sub_u32_e32 v11, v9, v6
	v_lshrrev_b32_e32 v11, 1, v11
	v_add_u32_e32 v11, v11, v6
	v_not_b32_e32 v13, v11
	v_lshl_add_u32 v12, v11, 2, v0
	v_lshl_add_u32 v13, v13, 2, v10
	ds_read_b32 v12, v12
	ds_read_b32 v13, v13 offset:32
	v_add_u32_e32 v14, 1, v11
	s_waitcnt lgkmcnt(0)
	v_cmp_lt_f32_e32 vcc, v13, v12
	v_cndmask_b32_e32 v9, v9, v11, vcc
	v_cndmask_b32_e32 v6, v14, v6, vcc
	v_cmp_ge_i32_e32 vcc, v6, v9
	s_or_b64 s[2:3], vcc, s[2:3]
	s_andn2_b64 exec, exec, s[2:3]
	s_cbranch_execnz .LBB42_14
; %bb.15:
	s_or_b64 exec, exec, s[2:3]
.LBB42_16:
	s_or_b64 exec, exec, s[0:1]
	v_sub_u32_e32 v5, v5, v6
	v_lshl_add_u32 v9, v6, 2, v0
	v_lshl_add_u32 v10, v5, 2, v0
	ds_read_b32 v9, v9
	ds_read_b32 v10, v10 offset:32
	v_add_u32_e32 v5, 8, v5
	v_cmp_lt_i32_e64 s[0:1], 7, v6
	v_cmp_gt_i32_e32 vcc, 16, v5
	s_waitcnt lgkmcnt(0)
	v_cmp_lt_f32_e64 s[2:3], v10, v9
	s_or_b64 s[0:1], s[0:1], s[2:3]
	s_and_b64 vcc, vcc, s[0:1]
	v_cndmask_b32_e32 v5, v6, v5, vcc
	v_add_u32_e32 v0, v0, v5
	; wave barrier
	ds_write_b8 v7, v8
	; wave barrier
	ds_read_u8 v0, v0
	v_cndmask_b32_e32 v9, v9, v10, vcc
	global_store_dword v[1:2], v9, off
	s_waitcnt lgkmcnt(0)
	global_store_byte v[3:4], v0, off
	s_endpgm
	.section	.rodata,"a",@progbits
	.p2align	6, 0x0
	.amdhsa_kernel _Z21sort_keys_values_fullILj64ELj16ELj1ELb0EfcN10test_utils4lessEEvPT3_PT4_T5_
		.amdhsa_group_segment_fixed_size 272
		.amdhsa_private_segment_fixed_size 0
		.amdhsa_kernarg_size 20
		.amdhsa_user_sgpr_count 6
		.amdhsa_user_sgpr_private_segment_buffer 1
		.amdhsa_user_sgpr_dispatch_ptr 0
		.amdhsa_user_sgpr_queue_ptr 0
		.amdhsa_user_sgpr_kernarg_segment_ptr 1
		.amdhsa_user_sgpr_dispatch_id 0
		.amdhsa_user_sgpr_flat_scratch_init 0
		.amdhsa_user_sgpr_private_segment_size 0
		.amdhsa_uses_dynamic_stack 0
		.amdhsa_system_sgpr_private_segment_wavefront_offset 0
		.amdhsa_system_sgpr_workgroup_id_x 1
		.amdhsa_system_sgpr_workgroup_id_y 0
		.amdhsa_system_sgpr_workgroup_id_z 0
		.amdhsa_system_sgpr_workgroup_info 0
		.amdhsa_system_vgpr_workitem_id 0
		.amdhsa_next_free_vgpr 21
		.amdhsa_next_free_sgpr 8
		.amdhsa_reserve_vcc 1
		.amdhsa_reserve_flat_scratch 0
		.amdhsa_float_round_mode_32 0
		.amdhsa_float_round_mode_16_64 0
		.amdhsa_float_denorm_mode_32 3
		.amdhsa_float_denorm_mode_16_64 3
		.amdhsa_dx10_clamp 1
		.amdhsa_ieee_mode 1
		.amdhsa_fp16_overflow 0
		.amdhsa_exception_fp_ieee_invalid_op 0
		.amdhsa_exception_fp_denorm_src 0
		.amdhsa_exception_fp_ieee_div_zero 0
		.amdhsa_exception_fp_ieee_overflow 0
		.amdhsa_exception_fp_ieee_underflow 0
		.amdhsa_exception_fp_ieee_inexact 0
		.amdhsa_exception_int_div_zero 0
	.end_amdhsa_kernel
	.section	.text._Z21sort_keys_values_fullILj64ELj16ELj1ELb0EfcN10test_utils4lessEEvPT3_PT4_T5_,"axG",@progbits,_Z21sort_keys_values_fullILj64ELj16ELj1ELb0EfcN10test_utils4lessEEvPT3_PT4_T5_,comdat
.Lfunc_end42:
	.size	_Z21sort_keys_values_fullILj64ELj16ELj1ELb0EfcN10test_utils4lessEEvPT3_PT4_T5_, .Lfunc_end42-_Z21sort_keys_values_fullILj64ELj16ELj1ELb0EfcN10test_utils4lessEEvPT3_PT4_T5_
                                        ; -- End function
	.set _Z21sort_keys_values_fullILj64ELj16ELj1ELb0EfcN10test_utils4lessEEvPT3_PT4_T5_.num_vgpr, 21
	.set _Z21sort_keys_values_fullILj64ELj16ELj1ELb0EfcN10test_utils4lessEEvPT3_PT4_T5_.num_agpr, 0
	.set _Z21sort_keys_values_fullILj64ELj16ELj1ELb0EfcN10test_utils4lessEEvPT3_PT4_T5_.numbered_sgpr, 8
	.set _Z21sort_keys_values_fullILj64ELj16ELj1ELb0EfcN10test_utils4lessEEvPT3_PT4_T5_.num_named_barrier, 0
	.set _Z21sort_keys_values_fullILj64ELj16ELj1ELb0EfcN10test_utils4lessEEvPT3_PT4_T5_.private_seg_size, 0
	.set _Z21sort_keys_values_fullILj64ELj16ELj1ELb0EfcN10test_utils4lessEEvPT3_PT4_T5_.uses_vcc, 1
	.set _Z21sort_keys_values_fullILj64ELj16ELj1ELb0EfcN10test_utils4lessEEvPT3_PT4_T5_.uses_flat_scratch, 0
	.set _Z21sort_keys_values_fullILj64ELj16ELj1ELb0EfcN10test_utils4lessEEvPT3_PT4_T5_.has_dyn_sized_stack, 0
	.set _Z21sort_keys_values_fullILj64ELj16ELj1ELb0EfcN10test_utils4lessEEvPT3_PT4_T5_.has_recursion, 0
	.set _Z21sort_keys_values_fullILj64ELj16ELj1ELb0EfcN10test_utils4lessEEvPT3_PT4_T5_.has_indirect_call, 0
	.section	.AMDGPU.csdata,"",@progbits
; Kernel info:
; codeLenInByte = 1236
; TotalNumSgprs: 12
; NumVgprs: 21
; ScratchSize: 0
; MemoryBound: 0
; FloatMode: 240
; IeeeMode: 1
; LDSByteSize: 272 bytes/workgroup (compile time only)
; SGPRBlocks: 1
; VGPRBlocks: 5
; NumSGPRsForWavesPerEU: 12
; NumVGPRsForWavesPerEU: 21
; Occupancy: 10
; WaveLimiterHint : 0
; COMPUTE_PGM_RSRC2:SCRATCH_EN: 0
; COMPUTE_PGM_RSRC2:USER_SGPR: 6
; COMPUTE_PGM_RSRC2:TRAP_HANDLER: 0
; COMPUTE_PGM_RSRC2:TGID_X_EN: 1
; COMPUTE_PGM_RSRC2:TGID_Y_EN: 0
; COMPUTE_PGM_RSRC2:TGID_Z_EN: 0
; COMPUTE_PGM_RSRC2:TIDIG_COMP_CNT: 0
	.section	.text._Z21sort_keys_values_fullILj256ELj2ELj1ELb0EjiN10test_utils4lessEEvPT3_PT4_T5_,"axG",@progbits,_Z21sort_keys_values_fullILj256ELj2ELj1ELb0EjiN10test_utils4lessEEvPT3_PT4_T5_,comdat
	.protected	_Z21sort_keys_values_fullILj256ELj2ELj1ELb0EjiN10test_utils4lessEEvPT3_PT4_T5_ ; -- Begin function _Z21sort_keys_values_fullILj256ELj2ELj1ELb0EjiN10test_utils4lessEEvPT3_PT4_T5_
	.globl	_Z21sort_keys_values_fullILj256ELj2ELj1ELb0EjiN10test_utils4lessEEvPT3_PT4_T5_
	.p2align	8
	.type	_Z21sort_keys_values_fullILj256ELj2ELj1ELb0EjiN10test_utils4lessEEvPT3_PT4_T5_,@function
_Z21sort_keys_values_fullILj256ELj2ELj1ELb0EjiN10test_utils4lessEEvPT3_PT4_T5_: ; @_Z21sort_keys_values_fullILj256ELj2ELj1ELb0EjiN10test_utils4lessEEvPT3_PT4_T5_
; %bb.0:
	s_load_dwordx4 s[0:3], s[4:5], 0x0
	s_lshl_b32 s4, s6, 8
	s_mov_b32 s5, 0
	s_lshl_b64 s[4:5], s[4:5], 2
	v_lshlrev_b32_e32 v2, 2, v0
	s_waitcnt lgkmcnt(0)
	s_add_u32 s0, s0, s4
	s_addc_u32 s1, s1, s5
	s_add_u32 s2, s2, s4
	s_addc_u32 s3, s3, s5
	global_load_dword v9, v2, s[0:1]
	global_load_dword v4, v2, s[2:3]
	v_mbcnt_lo_u32_b32 v1, -1, 0
	v_mbcnt_hi_u32_b32 v1, -1, v1
	v_and_b32_e32 v8, 1, v1
	v_lshrrev_b32_e32 v0, 1, v0
	v_lshlrev_b32_e32 v1, 2, v8
	v_mul_u32_u24_e32 v5, 12, v0
	v_mad_u32_u24 v7, v0, 12, v1
	v_mov_b32_e32 v1, s1
	v_add_co_u32_e32 v0, vcc, s0, v2
	v_addc_co_u32_e32 v1, vcc, 0, v1, vcc
	v_mov_b32_e32 v3, s3
	v_add_co_u32_e32 v2, vcc, s2, v2
	v_addc_co_u32_e32 v3, vcc, 0, v3, vcc
	v_mov_b32_e32 v6, 0
	v_cmp_eq_u32_e32 vcc, 1, v8
	; wave barrier
	s_waitcnt vmcnt(1)
	ds_write_b32 v7, v9
	; wave barrier
	s_and_saveexec_b64 s[0:1], vcc
	s_cbranch_execz .LBB43_4
; %bb.1:
	v_mov_b32_e32 v9, 1
	v_mov_b32_e32 v6, 0
	s_mov_b64 s[2:3], 0
.LBB43_2:                               ; =>This Inner Loop Header: Depth=1
	v_sub_u32_e32 v10, v9, v6
	v_lshrrev_b32_e32 v10, 1, v10
	v_add_u32_e32 v10, v10, v6
	v_lshlrev_b32_e32 v11, 2, v10
	v_add_u32_e32 v12, v5, v11
	v_sub_u32_e32 v11, v5, v11
	ds_read_b32 v12, v12
	ds_read_b32 v11, v11 offset:4
	v_add_u32_e32 v13, 1, v10
	s_waitcnt lgkmcnt(0)
	v_cmp_lt_u32_e32 vcc, v11, v12
	v_cndmask_b32_e32 v9, v9, v10, vcc
	v_cndmask_b32_e32 v6, v13, v6, vcc
	v_cmp_ge_i32_e32 vcc, v6, v9
	s_or_b64 s[2:3], vcc, s[2:3]
	s_andn2_b64 exec, exec, s[2:3]
	s_cbranch_execnz .LBB43_2
; %bb.3:
	s_or_b64 exec, exec, s[2:3]
.LBB43_4:
	s_or_b64 exec, exec, s[0:1]
	v_sub_u32_e32 v8, v8, v6
	v_lshl_add_u32 v9, v6, 2, v5
	v_lshl_add_u32 v10, v8, 2, v5
	ds_read_b32 v9, v9
	ds_read_b32 v10, v10 offset:4
	v_add_u32_e32 v8, 1, v8
	v_cmp_lt_i32_e64 s[0:1], 0, v6
	v_cmp_gt_i32_e32 vcc, 2, v8
	s_waitcnt lgkmcnt(0)
	v_cmp_lt_u32_e64 s[2:3], v10, v9
	s_or_b64 s[0:1], s[0:1], s[2:3]
	s_and_b64 vcc, vcc, s[0:1]
	v_cndmask_b32_e32 v6, v6, v8, vcc
	; wave barrier
	s_waitcnt vmcnt(0)
	ds_write_b32 v7, v4
	v_lshl_add_u32 v4, v6, 2, v5
	; wave barrier
	ds_read_b32 v4, v4
	v_cndmask_b32_e32 v9, v9, v10, vcc
	global_store_dword v[0:1], v9, off
	s_waitcnt lgkmcnt(0)
	global_store_dword v[2:3], v4, off
	s_endpgm
	.section	.rodata,"a",@progbits
	.p2align	6, 0x0
	.amdhsa_kernel _Z21sort_keys_values_fullILj256ELj2ELj1ELb0EjiN10test_utils4lessEEvPT3_PT4_T5_
		.amdhsa_group_segment_fixed_size 1536
		.amdhsa_private_segment_fixed_size 0
		.amdhsa_kernarg_size 20
		.amdhsa_user_sgpr_count 6
		.amdhsa_user_sgpr_private_segment_buffer 1
		.amdhsa_user_sgpr_dispatch_ptr 0
		.amdhsa_user_sgpr_queue_ptr 0
		.amdhsa_user_sgpr_kernarg_segment_ptr 1
		.amdhsa_user_sgpr_dispatch_id 0
		.amdhsa_user_sgpr_flat_scratch_init 0
		.amdhsa_user_sgpr_private_segment_size 0
		.amdhsa_uses_dynamic_stack 0
		.amdhsa_system_sgpr_private_segment_wavefront_offset 0
		.amdhsa_system_sgpr_workgroup_id_x 1
		.amdhsa_system_sgpr_workgroup_id_y 0
		.amdhsa_system_sgpr_workgroup_id_z 0
		.amdhsa_system_sgpr_workgroup_info 0
		.amdhsa_system_vgpr_workitem_id 0
		.amdhsa_next_free_vgpr 14
		.amdhsa_next_free_sgpr 7
		.amdhsa_reserve_vcc 1
		.amdhsa_reserve_flat_scratch 0
		.amdhsa_float_round_mode_32 0
		.amdhsa_float_round_mode_16_64 0
		.amdhsa_float_denorm_mode_32 3
		.amdhsa_float_denorm_mode_16_64 3
		.amdhsa_dx10_clamp 1
		.amdhsa_ieee_mode 1
		.amdhsa_fp16_overflow 0
		.amdhsa_exception_fp_ieee_invalid_op 0
		.amdhsa_exception_fp_denorm_src 0
		.amdhsa_exception_fp_ieee_div_zero 0
		.amdhsa_exception_fp_ieee_overflow 0
		.amdhsa_exception_fp_ieee_underflow 0
		.amdhsa_exception_fp_ieee_inexact 0
		.amdhsa_exception_int_div_zero 0
	.end_amdhsa_kernel
	.section	.text._Z21sort_keys_values_fullILj256ELj2ELj1ELb0EjiN10test_utils4lessEEvPT3_PT4_T5_,"axG",@progbits,_Z21sort_keys_values_fullILj256ELj2ELj1ELb0EjiN10test_utils4lessEEvPT3_PT4_T5_,comdat
.Lfunc_end43:
	.size	_Z21sort_keys_values_fullILj256ELj2ELj1ELb0EjiN10test_utils4lessEEvPT3_PT4_T5_, .Lfunc_end43-_Z21sort_keys_values_fullILj256ELj2ELj1ELb0EjiN10test_utils4lessEEvPT3_PT4_T5_
                                        ; -- End function
	.set _Z21sort_keys_values_fullILj256ELj2ELj1ELb0EjiN10test_utils4lessEEvPT3_PT4_T5_.num_vgpr, 14
	.set _Z21sort_keys_values_fullILj256ELj2ELj1ELb0EjiN10test_utils4lessEEvPT3_PT4_T5_.num_agpr, 0
	.set _Z21sort_keys_values_fullILj256ELj2ELj1ELb0EjiN10test_utils4lessEEvPT3_PT4_T5_.numbered_sgpr, 7
	.set _Z21sort_keys_values_fullILj256ELj2ELj1ELb0EjiN10test_utils4lessEEvPT3_PT4_T5_.num_named_barrier, 0
	.set _Z21sort_keys_values_fullILj256ELj2ELj1ELb0EjiN10test_utils4lessEEvPT3_PT4_T5_.private_seg_size, 0
	.set _Z21sort_keys_values_fullILj256ELj2ELj1ELb0EjiN10test_utils4lessEEvPT3_PT4_T5_.uses_vcc, 1
	.set _Z21sort_keys_values_fullILj256ELj2ELj1ELb0EjiN10test_utils4lessEEvPT3_PT4_T5_.uses_flat_scratch, 0
	.set _Z21sort_keys_values_fullILj256ELj2ELj1ELb0EjiN10test_utils4lessEEvPT3_PT4_T5_.has_dyn_sized_stack, 0
	.set _Z21sort_keys_values_fullILj256ELj2ELj1ELb0EjiN10test_utils4lessEEvPT3_PT4_T5_.has_recursion, 0
	.set _Z21sort_keys_values_fullILj256ELj2ELj1ELb0EjiN10test_utils4lessEEvPT3_PT4_T5_.has_indirect_call, 0
	.section	.AMDGPU.csdata,"",@progbits
; Kernel info:
; codeLenInByte = 380
; TotalNumSgprs: 11
; NumVgprs: 14
; ScratchSize: 0
; MemoryBound: 0
; FloatMode: 240
; IeeeMode: 1
; LDSByteSize: 1536 bytes/workgroup (compile time only)
; SGPRBlocks: 1
; VGPRBlocks: 3
; NumSGPRsForWavesPerEU: 11
; NumVGPRsForWavesPerEU: 14
; Occupancy: 10
; WaveLimiterHint : 0
; COMPUTE_PGM_RSRC2:SCRATCH_EN: 0
; COMPUTE_PGM_RSRC2:USER_SGPR: 6
; COMPUTE_PGM_RSRC2:TRAP_HANDLER: 0
; COMPUTE_PGM_RSRC2:TGID_X_EN: 1
; COMPUTE_PGM_RSRC2:TGID_Y_EN: 0
; COMPUTE_PGM_RSRC2:TGID_Z_EN: 0
; COMPUTE_PGM_RSRC2:TIDIG_COMP_CNT: 0
	.section	.AMDGPU.gpr_maximums,"",@progbits
	.set amdgpu.max_num_vgpr, 0
	.set amdgpu.max_num_agpr, 0
	.set amdgpu.max_num_sgpr, 0
	.section	.AMDGPU.csdata,"",@progbits
	.protected	_ZN9sort_lastIN10test_utils4lessENS0_16custom_test_typeIfEEE5valueE ; @_ZN9sort_lastIN10test_utils4lessENS0_16custom_test_typeIfEEE5valueE
	.type	_ZN9sort_lastIN10test_utils4lessENS0_16custom_test_typeIfEEE5valueE,@object
	.section	.rodata._ZN9sort_lastIN10test_utils4lessENS0_16custom_test_typeIfEEE5valueE,"aG",@progbits,_ZN9sort_lastIN10test_utils4lessENS0_16custom_test_typeIfEEE5valueE,comdat
	.weak	_ZN9sort_lastIN10test_utils4lessENS0_16custom_test_typeIfEEE5valueE
	.p2align	2, 0x0
_ZN9sort_lastIN10test_utils4lessENS0_16custom_test_typeIfEEE5valueE:
	.long	0x7f7fffff                      ; float 3.40282347E+38
	.long	0x7f7fffff                      ; float 3.40282347E+38
	.size	_ZN9sort_lastIN10test_utils4lessENS0_16custom_test_typeIfEEE5valueE, 8

	.type	__hip_cuid_61152387ae5932e7,@object ; @__hip_cuid_61152387ae5932e7
	.section	.bss,"aw",@nobits
	.globl	__hip_cuid_61152387ae5932e7
__hip_cuid_61152387ae5932e7:
	.byte	0                               ; 0x0
	.size	__hip_cuid_61152387ae5932e7, 1

	.ident	"AMD clang version 22.0.0git (https://github.com/RadeonOpenCompute/llvm-project roc-7.2.4 26084 f58b06dce1f9c15707c5f808fd002e18c2accf7e)"
	.section	".note.GNU-stack","",@progbits
	.addrsig
	.addrsig_sym __hip_cuid_61152387ae5932e7
	.amdgpu_metadata
---
amdhsa.kernels:
  - .args:
      - .address_space:  global
        .offset:         0
        .size:           8
        .value_kind:     global_buffer
      - .address_space:  global
        .offset:         8
        .size:           8
        .value_kind:     global_buffer
      - .offset:         16
        .size:           1
        .value_kind:     by_value
    .group_segment_fixed_size: 7200
    .kernarg_segment_align: 8
    .kernarg_segment_size: 20
    .language:       OpenCL C
    .language_version:
      - 2
      - 0
    .max_flat_workgroup_size: 256
    .name:           _Z19sort_keys_segmentedILj256ELj32ELj7ELb0EiN10test_utils7greaterEEvPT3_PKjT4_
    .private_segment_fixed_size: 0
    .sgpr_count:     32
    .sgpr_spill_count: 0
    .symbol:         _Z19sort_keys_segmentedILj256ELj32ELj7ELb0EiN10test_utils7greaterEEvPT3_PKjT4_.kd
    .uniform_work_group_size: 1
    .uses_dynamic_stack: false
    .vgpr_count:     26
    .vgpr_spill_count: 0
    .wavefront_size: 64
  - .args:
      - .address_space:  global
        .offset:         0
        .size:           8
        .value_kind:     global_buffer
      - .address_space:  global
        .offset:         8
        .size:           8
        .value_kind:     global_buffer
      - .offset:         16
        .size:           1
        .value_kind:     by_value
    .group_segment_fixed_size: 8448
    .kernarg_segment_align: 8
    .kernarg_segment_size: 20
    .language:       OpenCL C
    .language_version:
      - 2
      - 0
    .max_flat_workgroup_size: 256
    .name:           _Z19sort_keys_segmentedILj256ELj8ELj4ELb1ExN10test_utils4lessEEvPT3_PKjT4_
    .private_segment_fixed_size: 0
    .sgpr_count:     20
    .sgpr_spill_count: 0
    .symbol:         _Z19sort_keys_segmentedILj256ELj8ELj4ELb1ExN10test_utils4lessEEvPT3_PKjT4_.kd
    .uniform_work_group_size: 1
    .uses_dynamic_stack: false
    .vgpr_count:     31
    .vgpr_spill_count: 0
    .wavefront_size: 64
  - .args:
      - .address_space:  global
        .offset:         0
        .size:           8
        .value_kind:     global_buffer
      - .address_space:  global
        .offset:         8
        .size:           8
        .value_kind:     global_buffer
      - .offset:         16
        .size:           1
        .value_kind:     by_value
    .group_segment_fixed_size: 16448
    .kernarg_segment_align: 8
    .kernarg_segment_size: 20
    .language:       OpenCL C
    .language_version:
      - 2
      - 0
    .max_flat_workgroup_size: 256
    .name:           _Z19sort_keys_segmentedILj256ELj32ELj8ELb0EN10test_utils16custom_test_typeIfEENS0_4lessEEvPT3_PKjT4_
    .private_segment_fixed_size: 0
    .sgpr_count:     44
    .sgpr_spill_count: 0
    .symbol:         _Z19sort_keys_segmentedILj256ELj32ELj8ELb0EN10test_utils16custom_test_typeIfEENS0_4lessEEvPT3_PKjT4_.kd
    .uniform_work_group_size: 1
    .uses_dynamic_stack: false
    .vgpr_count:     44
    .vgpr_spill_count: 0
    .wavefront_size: 64
  - .args:
      - .address_space:  global
        .offset:         0
        .size:           8
        .value_kind:     global_buffer
      - .address_space:  global
        .offset:         8
        .size:           8
        .value_kind:     global_buffer
      - .offset:         16
        .size:           1
        .value_kind:     by_value
    .group_segment_fixed_size: 8256
    .kernarg_segment_align: 8
    .kernarg_segment_size: 20
    .language:       OpenCL C
    .language_version:
      - 2
      - 0
    .max_flat_workgroup_size: 256
    .name:           _Z19sort_keys_segmentedILj256ELj32ELj4ELb0EN10test_utils16custom_test_typeIfEENS0_4lessEEvPT3_PKjT4_
    .private_segment_fixed_size: 0
    .sgpr_count:     26
    .sgpr_spill_count: 0
    .symbol:         _Z19sort_keys_segmentedILj256ELj32ELj4ELb0EN10test_utils16custom_test_typeIfEENS0_4lessEEvPT3_PKjT4_.kd
    .uniform_work_group_size: 1
    .uses_dynamic_stack: false
    .vgpr_count:     28
    .vgpr_spill_count: 0
    .wavefront_size: 64
  - .args:
      - .address_space:  global
        .offset:         0
        .size:           8
        .value_kind:     global_buffer
      - .address_space:  global
        .offset:         8
        .size:           8
        .value_kind:     global_buffer
      - .offset:         16
        .size:           1
        .value_kind:     by_value
    .group_segment_fixed_size: 4160
    .kernarg_segment_align: 8
    .kernarg_segment_size: 20
    .language:       OpenCL C
    .language_version:
      - 2
      - 0
    .max_flat_workgroup_size: 256
    .name:           _Z19sort_keys_segmentedILj256ELj32ELj2ELb0EN10test_utils16custom_test_typeIfEENS0_4lessEEvPT3_PKjT4_
    .private_segment_fixed_size: 0
    .sgpr_count:     20
    .sgpr_spill_count: 0
    .symbol:         _Z19sort_keys_segmentedILj256ELj32ELj2ELb0EN10test_utils16custom_test_typeIfEENS0_4lessEEvPT3_PKjT4_.kd
    .uniform_work_group_size: 1
    .uses_dynamic_stack: false
    .vgpr_count:     20
    .vgpr_spill_count: 0
    .wavefront_size: 64
  - .args:
      - .address_space:  global
        .offset:         0
        .size:           8
        .value_kind:     global_buffer
      - .address_space:  global
        .offset:         8
        .size:           8
        .value_kind:     global_buffer
      - .offset:         16
        .size:           1
        .value_kind:     by_value
    .group_segment_fixed_size: 66
    .kernarg_segment_align: 8
    .kernarg_segment_size: 20
    .language:       OpenCL C
    .language_version:
      - 2
      - 0
    .max_flat_workgroup_size: 32
    .name:           _Z19sort_keys_segmentedILj32ELj32ELj1ELb0E12hip_bfloat16N10test_utils4lessEEvPT3_PKjT4_
    .private_segment_fixed_size: 0
    .sgpr_count:     12
    .sgpr_spill_count: 0
    .symbol:         _Z19sort_keys_segmentedILj32ELj32ELj1ELb0E12hip_bfloat16N10test_utils4lessEEvPT3_PKjT4_.kd
    .uniform_work_group_size: 1
    .uses_dynamic_stack: false
    .vgpr_count:     18
    .vgpr_spill_count: 0
    .wavefront_size: 64
  - .args:
      - .address_space:  global
        .offset:         0
        .size:           8
        .value_kind:     global_buffer
      - .address_space:  global
        .offset:         8
        .size:           8
        .value_kind:     global_buffer
      - .offset:         16
        .size:           1
        .value_kind:     by_value
    .group_segment_fixed_size: 66
    .kernarg_segment_align: 8
    .kernarg_segment_size: 20
    .language:       OpenCL C
    .language_version:
      - 2
      - 0
    .max_flat_workgroup_size: 32
    .name:           _Z19sort_keys_segmentedILj32ELj32ELj1ELb0E6__halfN10test_utils4lessEEvPT3_PKjT4_
    .private_segment_fixed_size: 0
    .sgpr_count:     12
    .sgpr_spill_count: 0
    .symbol:         _Z19sort_keys_segmentedILj32ELj32ELj1ELb0E6__halfN10test_utils4lessEEvPT3_PKjT4_.kd
    .uniform_work_group_size: 1
    .uses_dynamic_stack: false
    .vgpr_count:     18
    .vgpr_spill_count: 0
    .wavefront_size: 64
  - .args:
      - .address_space:  global
        .offset:         0
        .size:           8
        .value_kind:     global_buffer
      - .address_space:  global
        .offset:         8
        .size:           8
        .value_kind:     global_buffer
      - .offset:         16
        .size:           1
        .value_kind:     by_value
    .group_segment_fixed_size: 1040
    .kernarg_segment_align: 8
    .kernarg_segment_size: 20
    .language:       OpenCL C
    .language_version:
      - 2
      - 0
    .max_flat_workgroup_size: 512
    .name:           _Z19sort_keys_segmentedILj512ELj64ELj1ELb0EsN10test_utils4lessEEvPT3_PKjT4_
    .private_segment_fixed_size: 0
    .sgpr_count:     11
    .sgpr_spill_count: 0
    .symbol:         _Z19sort_keys_segmentedILj512ELj64ELj1ELb0EsN10test_utils4lessEEvPT3_PKjT4_.kd
    .uniform_work_group_size: 1
    .uses_dynamic_stack: false
    .vgpr_count:     19
    .vgpr_spill_count: 0
    .wavefront_size: 64
  - .args:
      - .address_space:  global
        .offset:         0
        .size:           8
        .value_kind:     global_buffer
      - .address_space:  global
        .offset:         8
        .size:           8
        .value_kind:     global_buffer
      - .offset:         16
        .size:           1
        .value_kind:     by_value
    .group_segment_fixed_size: 264
    .kernarg_segment_align: 8
    .kernarg_segment_size: 20
    .language:       OpenCL C
    .language_version:
      - 2
      - 0
    .max_flat_workgroup_size: 32
    .name:           _Z19sort_keys_segmentedILj32ELj32ELj1ELb0EdN10test_utils4lessEEvPT3_PKjT4_
    .private_segment_fixed_size: 0
    .sgpr_count:     12
    .sgpr_spill_count: 0
    .symbol:         _Z19sort_keys_segmentedILj32ELj32ELj1ELb0EdN10test_utils4lessEEvPT3_PKjT4_.kd
    .uniform_work_group_size: 1
    .uses_dynamic_stack: false
    .vgpr_count:     19
    .vgpr_spill_count: 0
    .wavefront_size: 64
  - .args:
      - .address_space:  global
        .offset:         0
        .size:           8
        .value_kind:     global_buffer
      - .address_space:  global
        .offset:         8
        .size:           8
        .value_kind:     global_buffer
      - .offset:         16
        .size:           1
        .value_kind:     by_value
    .group_segment_fixed_size: 272
    .kernarg_segment_align: 8
    .kernarg_segment_size: 20
    .language:       OpenCL C
    .language_version:
      - 2
      - 0
    .max_flat_workgroup_size: 64
    .name:           _Z19sort_keys_segmentedILj64ELj16ELj1ELb0EfN10test_utils4lessEEvPT3_PKjT4_
    .private_segment_fixed_size: 0
    .sgpr_count:     11
    .sgpr_spill_count: 0
    .symbol:         _Z19sort_keys_segmentedILj64ELj16ELj1ELb0EfN10test_utils4lessEEvPT3_PKjT4_.kd
    .uniform_work_group_size: 1
    .uses_dynamic_stack: false
    .vgpr_count:     20
    .vgpr_spill_count: 0
    .wavefront_size: 64
  - .args:
      - .address_space:  global
        .offset:         0
        .size:           8
        .value_kind:     global_buffer
      - .address_space:  global
        .offset:         8
        .size:           8
        .value_kind:     global_buffer
      - .offset:         16
        .size:           1
        .value_kind:     by_value
    .group_segment_fixed_size: 1536
    .kernarg_segment_align: 8
    .kernarg_segment_size: 20
    .language:       OpenCL C
    .language_version:
      - 2
      - 0
    .max_flat_workgroup_size: 256
    .name:           _Z19sort_keys_segmentedILj256ELj2ELj1ELb0EjN10test_utils4lessEEvPT3_PKjT4_
    .private_segment_fixed_size: 0
    .sgpr_count:     11
    .sgpr_spill_count: 0
    .symbol:         _Z19sort_keys_segmentedILj256ELj2ELj1ELb0EjN10test_utils4lessEEvPT3_PKjT4_.kd
    .uniform_work_group_size: 1
    .uses_dynamic_stack: false
    .vgpr_count:     16
    .vgpr_spill_count: 0
    .wavefront_size: 64
  - .args:
      - .address_space:  global
        .offset:         0
        .size:           8
        .value_kind:     global_buffer
      - .address_space:  global
        .offset:         8
        .size:           8
        .value_kind:     global_buffer
      - .address_space:  global
        .offset:         16
        .size:           8
        .value_kind:     global_buffer
      - .offset:         24
        .size:           1
        .value_kind:     by_value
    .group_segment_fixed_size: 7200
    .kernarg_segment_align: 8
    .kernarg_segment_size: 28
    .language:       OpenCL C
    .language_version:
      - 2
      - 0
    .max_flat_workgroup_size: 256
    .name:           _Z26sort_keys_values_segmentedILj256ELj32ELj7ELb0EiN10test_utils16custom_test_typeIsEENS0_7greaterEEvPT3_PT4_PKjT5_
    .private_segment_fixed_size: 0
    .sgpr_count:     34
    .sgpr_spill_count: 0
    .symbol:         _Z26sort_keys_values_segmentedILj256ELj32ELj7ELb0EiN10test_utils16custom_test_typeIsEENS0_7greaterEEvPT3_PT4_PKjT5_.kd
    .uniform_work_group_size: 1
    .uses_dynamic_stack: false
    .vgpr_count:     45
    .vgpr_spill_count: 0
    .wavefront_size: 64
  - .args:
      - .address_space:  global
        .offset:         0
        .size:           8
        .value_kind:     global_buffer
      - .address_space:  global
        .offset:         8
        .size:           8
        .value_kind:     global_buffer
      - .address_space:  global
        .offset:         16
        .size:           8
        .value_kind:     global_buffer
      - .offset:         24
        .size:           1
        .value_kind:     by_value
    .group_segment_fixed_size: 8448
    .kernarg_segment_align: 8
    .kernarg_segment_size: 28
    .language:       OpenCL C
    .language_version:
      - 2
      - 0
    .max_flat_workgroup_size: 256
    .name:           _Z26sort_keys_values_segmentedILj256ELj8ELj4ELb1ExsN10test_utils4lessEEvPT3_PT4_PKjT5_
    .private_segment_fixed_size: 0
    .sgpr_count:     22
    .sgpr_spill_count: 0
    .symbol:         _Z26sort_keys_values_segmentedILj256ELj8ELj4ELb1ExsN10test_utils4lessEEvPT3_PT4_PKjT5_.kd
    .uniform_work_group_size: 1
    .uses_dynamic_stack: false
    .vgpr_count:     37
    .vgpr_spill_count: 0
    .wavefront_size: 64
  - .args:
      - .address_space:  global
        .offset:         0
        .size:           8
        .value_kind:     global_buffer
      - .address_space:  global
        .offset:         8
        .size:           8
        .value_kind:     global_buffer
      - .address_space:  global
        .offset:         16
        .size:           8
        .value_kind:     global_buffer
      - .offset:         24
        .size:           1
        .value_kind:     by_value
    .group_segment_fixed_size: 16448
    .kernarg_segment_align: 8
    .kernarg_segment_size: 28
    .language:       OpenCL C
    .language_version:
      - 2
      - 0
    .max_flat_workgroup_size: 256
    .name:           _Z26sort_keys_values_segmentedILj256ELj32ELj8ELb0EN10test_utils16custom_test_typeIfEEiNS0_4lessEEvPT3_PT4_PKjT5_
    .private_segment_fixed_size: 0
    .sgpr_count:     44
    .sgpr_spill_count: 0
    .symbol:         _Z26sort_keys_values_segmentedILj256ELj32ELj8ELb0EN10test_utils16custom_test_typeIfEEiNS0_4lessEEvPT3_PT4_PKjT5_.kd
    .uniform_work_group_size: 1
    .uses_dynamic_stack: false
    .vgpr_count:     68
    .vgpr_spill_count: 0
    .wavefront_size: 64
  - .args:
      - .address_space:  global
        .offset:         0
        .size:           8
        .value_kind:     global_buffer
      - .address_space:  global
        .offset:         8
        .size:           8
        .value_kind:     global_buffer
      - .address_space:  global
        .offset:         16
        .size:           8
        .value_kind:     global_buffer
      - .offset:         24
        .size:           1
        .value_kind:     by_value
    .group_segment_fixed_size: 8256
    .kernarg_segment_align: 8
    .kernarg_segment_size: 28
    .language:       OpenCL C
    .language_version:
      - 2
      - 0
    .max_flat_workgroup_size: 256
    .name:           _Z26sort_keys_values_segmentedILj256ELj32ELj4ELb0EN10test_utils16custom_test_typeIfEEiNS0_4lessEEvPT3_PT4_PKjT5_
    .private_segment_fixed_size: 0
    .sgpr_count:     26
    .sgpr_spill_count: 0
    .symbol:         _Z26sort_keys_values_segmentedILj256ELj32ELj4ELb0EN10test_utils16custom_test_typeIfEEiNS0_4lessEEvPT3_PT4_PKjT5_.kd
    .uniform_work_group_size: 1
    .uses_dynamic_stack: false
    .vgpr_count:     40
    .vgpr_spill_count: 0
    .wavefront_size: 64
  - .args:
      - .address_space:  global
        .offset:         0
        .size:           8
        .value_kind:     global_buffer
      - .address_space:  global
        .offset:         8
        .size:           8
        .value_kind:     global_buffer
      - .address_space:  global
        .offset:         16
        .size:           8
        .value_kind:     global_buffer
      - .offset:         24
        .size:           1
        .value_kind:     by_value
    .group_segment_fixed_size: 4160
    .kernarg_segment_align: 8
    .kernarg_segment_size: 28
    .language:       OpenCL C
    .language_version:
      - 2
      - 0
    .max_flat_workgroup_size: 256
    .name:           _Z26sort_keys_values_segmentedILj256ELj32ELj2ELb0EN10test_utils16custom_test_typeIfEEyNS0_4lessEEvPT3_PT4_PKjT5_
    .private_segment_fixed_size: 0
    .sgpr_count:     20
    .sgpr_spill_count: 0
    .symbol:         _Z26sort_keys_values_segmentedILj256ELj32ELj2ELb0EN10test_utils16custom_test_typeIfEEyNS0_4lessEEvPT3_PT4_PKjT5_.kd
    .uniform_work_group_size: 1
    .uses_dynamic_stack: false
    .vgpr_count:     27
    .vgpr_spill_count: 0
    .wavefront_size: 64
  - .args:
      - .address_space:  global
        .offset:         0
        .size:           8
        .value_kind:     global_buffer
      - .address_space:  global
        .offset:         8
        .size:           8
        .value_kind:     global_buffer
      - .address_space:  global
        .offset:         16
        .size:           8
        .value_kind:     global_buffer
      - .offset:         24
        .size:           1
        .value_kind:     by_value
    .group_segment_fixed_size: 132
    .kernarg_segment_align: 8
    .kernarg_segment_size: 28
    .language:       OpenCL C
    .language_version:
      - 2
      - 0
    .max_flat_workgroup_size: 32
    .name:           _Z26sort_keys_values_segmentedILj32ELj32ELj1ELb0E12hip_bfloat16iN10test_utils4lessEEvPT3_PT4_PKjT5_
    .private_segment_fixed_size: 0
    .sgpr_count:     12
    .sgpr_spill_count: 0
    .symbol:         _Z26sort_keys_values_segmentedILj32ELj32ELj1ELb0E12hip_bfloat16iN10test_utils4lessEEvPT3_PT4_PKjT5_.kd
    .uniform_work_group_size: 1
    .uses_dynamic_stack: false
    .vgpr_count:     23
    .vgpr_spill_count: 0
    .wavefront_size: 64
  - .args:
      - .address_space:  global
        .offset:         0
        .size:           8
        .value_kind:     global_buffer
      - .address_space:  global
        .offset:         8
        .size:           8
        .value_kind:     global_buffer
      - .address_space:  global
        .offset:         16
        .size:           8
        .value_kind:     global_buffer
      - .offset:         24
        .size:           1
        .value_kind:     by_value
    .group_segment_fixed_size: 132
    .kernarg_segment_align: 8
    .kernarg_segment_size: 28
    .language:       OpenCL C
    .language_version:
      - 2
      - 0
    .max_flat_workgroup_size: 32
    .name:           _Z26sort_keys_values_segmentedILj32ELj32ELj1ELb0E6__halfiN10test_utils4lessEEvPT3_PT4_PKjT5_
    .private_segment_fixed_size: 0
    .sgpr_count:     12
    .sgpr_spill_count: 0
    .symbol:         _Z26sort_keys_values_segmentedILj32ELj32ELj1ELb0E6__halfiN10test_utils4lessEEvPT3_PT4_PKjT5_.kd
    .uniform_work_group_size: 1
    .uses_dynamic_stack: false
    .vgpr_count:     23
    .vgpr_spill_count: 0
    .wavefront_size: 64
  - .args:
      - .address_space:  global
        .offset:         0
        .size:           8
        .value_kind:     global_buffer
      - .address_space:  global
        .offset:         8
        .size:           8
        .value_kind:     global_buffer
      - .address_space:  global
        .offset:         16
        .size:           8
        .value_kind:     global_buffer
      - .offset:         24
        .size:           1
        .value_kind:     by_value
    .group_segment_fixed_size: 2080
    .kernarg_segment_align: 8
    .kernarg_segment_size: 28
    .language:       OpenCL C
    .language_version:
      - 2
      - 0
    .max_flat_workgroup_size: 512
    .name:           _Z26sort_keys_values_segmentedILj512ELj64ELj1ELb0EsiN10test_utils4lessEEvPT3_PT4_PKjT5_
    .private_segment_fixed_size: 0
    .sgpr_count:     11
    .sgpr_spill_count: 0
    .symbol:         _Z26sort_keys_values_segmentedILj512ELj64ELj1ELb0EsiN10test_utils4lessEEvPT3_PT4_PKjT5_.kd
    .uniform_work_group_size: 1
    .uses_dynamic_stack: false
    .vgpr_count:     24
    .vgpr_spill_count: 0
    .wavefront_size: 64
  - .args:
      - .address_space:  global
        .offset:         0
        .size:           8
        .value_kind:     global_buffer
      - .address_space:  global
        .offset:         8
        .size:           8
        .value_kind:     global_buffer
      - .address_space:  global
        .offset:         16
        .size:           8
        .value_kind:     global_buffer
      - .offset:         24
        .size:           1
        .value_kind:     by_value
    .group_segment_fixed_size: 264
    .kernarg_segment_align: 8
    .kernarg_segment_size: 28
    .language:       OpenCL C
    .language_version:
      - 2
      - 0
    .max_flat_workgroup_size: 32
    .name:           _Z26sort_keys_values_segmentedILj32ELj32ELj1ELb0EdiN10test_utils4lessEEvPT3_PT4_PKjT5_
    .private_segment_fixed_size: 0
    .sgpr_count:     12
    .sgpr_spill_count: 0
    .symbol:         _Z26sort_keys_values_segmentedILj32ELj32ELj1ELb0EdiN10test_utils4lessEEvPT3_PT4_PKjT5_.kd
    .uniform_work_group_size: 1
    .uses_dynamic_stack: false
    .vgpr_count:     24
    .vgpr_spill_count: 0
    .wavefront_size: 64
  - .args:
      - .address_space:  global
        .offset:         0
        .size:           8
        .value_kind:     global_buffer
      - .address_space:  global
        .offset:         8
        .size:           8
        .value_kind:     global_buffer
      - .address_space:  global
        .offset:         16
        .size:           8
        .value_kind:     global_buffer
      - .offset:         24
        .size:           1
        .value_kind:     by_value
    .group_segment_fixed_size: 272
    .kernarg_segment_align: 8
    .kernarg_segment_size: 28
    .language:       OpenCL C
    .language_version:
      - 2
      - 0
    .max_flat_workgroup_size: 64
    .name:           _Z26sort_keys_values_segmentedILj64ELj16ELj1ELb0EfcN10test_utils4lessEEvPT3_PT4_PKjT5_
    .private_segment_fixed_size: 0
    .sgpr_count:     11
    .sgpr_spill_count: 0
    .symbol:         _Z26sort_keys_values_segmentedILj64ELj16ELj1ELb0EfcN10test_utils4lessEEvPT3_PT4_PKjT5_.kd
    .uniform_work_group_size: 1
    .uses_dynamic_stack: false
    .vgpr_count:     24
    .vgpr_spill_count: 0
    .wavefront_size: 64
  - .args:
      - .address_space:  global
        .offset:         0
        .size:           8
        .value_kind:     global_buffer
      - .address_space:  global
        .offset:         8
        .size:           8
        .value_kind:     global_buffer
      - .address_space:  global
        .offset:         16
        .size:           8
        .value_kind:     global_buffer
      - .offset:         24
        .size:           1
        .value_kind:     by_value
    .group_segment_fixed_size: 1536
    .kernarg_segment_align: 8
    .kernarg_segment_size: 28
    .language:       OpenCL C
    .language_version:
      - 2
      - 0
    .max_flat_workgroup_size: 256
    .name:           _Z26sort_keys_values_segmentedILj256ELj2ELj1ELb0EjiN10test_utils4lessEEvPT3_PT4_PKjT5_
    .private_segment_fixed_size: 0
    .sgpr_count:     11
    .sgpr_spill_count: 0
    .symbol:         _Z26sort_keys_values_segmentedILj256ELj2ELj1ELb0EjiN10test_utils4lessEEvPT3_PT4_PKjT5_.kd
    .uniform_work_group_size: 1
    .uses_dynamic_stack: false
    .vgpr_count:     20
    .vgpr_spill_count: 0
    .wavefront_size: 64
  - .args:
      - .address_space:  global
        .offset:         0
        .size:           8
        .value_kind:     global_buffer
      - .offset:         8
        .size:           1
        .value_kind:     by_value
    .group_segment_fixed_size: 7200
    .kernarg_segment_align: 8
    .kernarg_segment_size: 12
    .language:       OpenCL C
    .language_version:
      - 2
      - 0
    .max_flat_workgroup_size: 256
    .name:           _Z14sort_keys_fullILj256ELj32ELj7ELb0EiN10test_utils7greaterEEvPT3_T4_
    .private_segment_fixed_size: 0
    .sgpr_count:     18
    .sgpr_spill_count: 0
    .symbol:         _Z14sort_keys_fullILj256ELj32ELj7ELb0EiN10test_utils7greaterEEvPT3_T4_.kd
    .uniform_work_group_size: 1
    .uses_dynamic_stack: false
    .vgpr_count:     26
    .vgpr_spill_count: 0
    .wavefront_size: 64
  - .args:
      - .address_space:  global
        .offset:         0
        .size:           8
        .value_kind:     global_buffer
      - .offset:         8
        .size:           1
        .value_kind:     by_value
    .group_segment_fixed_size: 8448
    .kernarg_segment_align: 8
    .kernarg_segment_size: 12
    .language:       OpenCL C
    .language_version:
      - 2
      - 0
    .max_flat_workgroup_size: 256
    .name:           _Z14sort_keys_fullILj256ELj8ELj4ELb1ExN10test_utils4lessEEvPT3_T4_
    .private_segment_fixed_size: 0
    .sgpr_count:     12
    .sgpr_spill_count: 0
    .symbol:         _Z14sort_keys_fullILj256ELj8ELj4ELb1ExN10test_utils4lessEEvPT3_T4_.kd
    .uniform_work_group_size: 1
    .uses_dynamic_stack: false
    .vgpr_count:     31
    .vgpr_spill_count: 0
    .wavefront_size: 64
  - .args:
      - .address_space:  global
        .offset:         0
        .size:           8
        .value_kind:     global_buffer
      - .offset:         8
        .size:           1
        .value_kind:     by_value
    .group_segment_fixed_size: 16448
    .kernarg_segment_align: 8
    .kernarg_segment_size: 12
    .language:       OpenCL C
    .language_version:
      - 2
      - 0
    .max_flat_workgroup_size: 256
    .name:           _Z14sort_keys_fullILj256ELj32ELj8ELb0EN10test_utils16custom_test_typeIfEENS0_4lessEEvPT3_T4_
    .private_segment_fixed_size: 0
    .sgpr_count:     26
    .sgpr_spill_count: 0
    .symbol:         _Z14sort_keys_fullILj256ELj32ELj8ELb0EN10test_utils16custom_test_typeIfEENS0_4lessEEvPT3_T4_.kd
    .uniform_work_group_size: 1
    .uses_dynamic_stack: false
    .vgpr_count:     43
    .vgpr_spill_count: 0
    .wavefront_size: 64
  - .args:
      - .address_space:  global
        .offset:         0
        .size:           8
        .value_kind:     global_buffer
      - .offset:         8
        .size:           1
        .value_kind:     by_value
    .group_segment_fixed_size: 8256
    .kernarg_segment_align: 8
    .kernarg_segment_size: 12
    .language:       OpenCL C
    .language_version:
      - 2
      - 0
    .max_flat_workgroup_size: 256
    .name:           _Z14sort_keys_fullILj256ELj32ELj4ELb0EN10test_utils16custom_test_typeIfEENS0_4lessEEvPT3_T4_
    .private_segment_fixed_size: 0
    .sgpr_count:     18
    .sgpr_spill_count: 0
    .symbol:         _Z14sort_keys_fullILj256ELj32ELj4ELb0EN10test_utils16custom_test_typeIfEENS0_4lessEEvPT3_T4_.kd
    .uniform_work_group_size: 1
    .uses_dynamic_stack: false
    .vgpr_count:     27
    .vgpr_spill_count: 0
    .wavefront_size: 64
  - .args:
      - .address_space:  global
        .offset:         0
        .size:           8
        .value_kind:     global_buffer
      - .offset:         8
        .size:           1
        .value_kind:     by_value
    .group_segment_fixed_size: 4160
    .kernarg_segment_align: 8
    .kernarg_segment_size: 12
    .language:       OpenCL C
    .language_version:
      - 2
      - 0
    .max_flat_workgroup_size: 256
    .name:           _Z14sort_keys_fullILj256ELj32ELj2ELb0EN10test_utils16custom_test_typeIfEENS0_4lessEEvPT3_T4_
    .private_segment_fixed_size: 0
    .sgpr_count:     16
    .sgpr_spill_count: 0
    .symbol:         _Z14sort_keys_fullILj256ELj32ELj2ELb0EN10test_utils16custom_test_typeIfEENS0_4lessEEvPT3_T4_.kd
    .uniform_work_group_size: 1
    .uses_dynamic_stack: false
    .vgpr_count:     20
    .vgpr_spill_count: 0
    .wavefront_size: 64
  - .args:
      - .address_space:  global
        .offset:         0
        .size:           8
        .value_kind:     global_buffer
      - .offset:         8
        .size:           1
        .value_kind:     by_value
    .group_segment_fixed_size: 66
    .kernarg_segment_align: 8
    .kernarg_segment_size: 12
    .language:       OpenCL C
    .language_version:
      - 2
      - 0
    .max_flat_workgroup_size: 32
    .name:           _Z14sort_keys_fullILj32ELj32ELj1ELb0E12hip_bfloat16N10test_utils4lessEEvPT3_T4_
    .private_segment_fixed_size: 0
    .sgpr_count:     11
    .sgpr_spill_count: 0
    .symbol:         _Z14sort_keys_fullILj32ELj32ELj1ELb0E12hip_bfloat16N10test_utils4lessEEvPT3_T4_.kd
    .uniform_work_group_size: 1
    .uses_dynamic_stack: false
    .vgpr_count:     16
    .vgpr_spill_count: 0
    .wavefront_size: 64
  - .args:
      - .address_space:  global
        .offset:         0
        .size:           8
        .value_kind:     global_buffer
      - .offset:         8
        .size:           1
        .value_kind:     by_value
    .group_segment_fixed_size: 66
    .kernarg_segment_align: 8
    .kernarg_segment_size: 12
    .language:       OpenCL C
    .language_version:
      - 2
      - 0
    .max_flat_workgroup_size: 32
    .name:           _Z14sort_keys_fullILj32ELj32ELj1ELb0E6__halfN10test_utils4lessEEvPT3_T4_
    .private_segment_fixed_size: 0
    .sgpr_count:     11
    .sgpr_spill_count: 0
    .symbol:         _Z14sort_keys_fullILj32ELj32ELj1ELb0E6__halfN10test_utils4lessEEvPT3_T4_.kd
    .uniform_work_group_size: 1
    .uses_dynamic_stack: false
    .vgpr_count:     16
    .vgpr_spill_count: 0
    .wavefront_size: 64
  - .args:
      - .address_space:  global
        .offset:         0
        .size:           8
        .value_kind:     global_buffer
      - .offset:         8
        .size:           1
        .value_kind:     by_value
    .group_segment_fixed_size: 1040
    .kernarg_segment_align: 8
    .kernarg_segment_size: 12
    .language:       OpenCL C
    .language_version:
      - 2
      - 0
    .max_flat_workgroup_size: 512
    .name:           _Z14sort_keys_fullILj512ELj64ELj1ELb0EsN10test_utils4lessEEvPT3_T4_
    .private_segment_fixed_size: 0
    .sgpr_count:     11
    .sgpr_spill_count: 0
    .symbol:         _Z14sort_keys_fullILj512ELj64ELj1ELb0EsN10test_utils4lessEEvPT3_T4_.kd
    .uniform_work_group_size: 1
    .uses_dynamic_stack: false
    .vgpr_count:     17
    .vgpr_spill_count: 0
    .wavefront_size: 64
  - .args:
      - .address_space:  global
        .offset:         0
        .size:           8
        .value_kind:     global_buffer
      - .offset:         8
        .size:           1
        .value_kind:     by_value
    .group_segment_fixed_size: 264
    .kernarg_segment_align: 8
    .kernarg_segment_size: 12
    .language:       OpenCL C
    .language_version:
      - 2
      - 0
    .max_flat_workgroup_size: 32
    .name:           _Z14sort_keys_fullILj32ELj32ELj1ELb0EdN10test_utils4lessEEvPT3_T4_
    .private_segment_fixed_size: 0
    .sgpr_count:     11
    .sgpr_spill_count: 0
    .symbol:         _Z14sort_keys_fullILj32ELj32ELj1ELb0EdN10test_utils4lessEEvPT3_T4_.kd
    .uniform_work_group_size: 1
    .uses_dynamic_stack: false
    .vgpr_count:     17
    .vgpr_spill_count: 0
    .wavefront_size: 64
  - .args:
      - .address_space:  global
        .offset:         0
        .size:           8
        .value_kind:     global_buffer
      - .offset:         8
        .size:           1
        .value_kind:     by_value
    .group_segment_fixed_size: 272
    .kernarg_segment_align: 8
    .kernarg_segment_size: 12
    .language:       OpenCL C
    .language_version:
      - 2
      - 0
    .max_flat_workgroup_size: 64
    .name:           _Z14sort_keys_fullILj64ELj16ELj1ELb0EfN10test_utils4lessEEvPT3_T4_
    .private_segment_fixed_size: 0
    .sgpr_count:     11
    .sgpr_spill_count: 0
    .symbol:         _Z14sort_keys_fullILj64ELj16ELj1ELb0EfN10test_utils4lessEEvPT3_T4_.kd
    .uniform_work_group_size: 1
    .uses_dynamic_stack: false
    .vgpr_count:     17
    .vgpr_spill_count: 0
    .wavefront_size: 64
  - .args:
      - .address_space:  global
        .offset:         0
        .size:           8
        .value_kind:     global_buffer
      - .offset:         8
        .size:           1
        .value_kind:     by_value
    .group_segment_fixed_size: 1536
    .kernarg_segment_align: 8
    .kernarg_segment_size: 12
    .language:       OpenCL C
    .language_version:
      - 2
      - 0
    .max_flat_workgroup_size: 256
    .name:           _Z14sort_keys_fullILj256ELj2ELj1ELb0EjN10test_utils4lessEEvPT3_T4_
    .private_segment_fixed_size: 0
    .sgpr_count:     11
    .sgpr_spill_count: 0
    .symbol:         _Z14sort_keys_fullILj256ELj2ELj1ELb0EjN10test_utils4lessEEvPT3_T4_.kd
    .uniform_work_group_size: 1
    .uses_dynamic_stack: false
    .vgpr_count:     10
    .vgpr_spill_count: 0
    .wavefront_size: 64
  - .args:
      - .address_space:  global
        .offset:         0
        .size:           8
        .value_kind:     global_buffer
      - .address_space:  global
        .offset:         8
        .size:           8
        .value_kind:     global_buffer
      - .offset:         16
        .size:           1
        .value_kind:     by_value
    .group_segment_fixed_size: 7200
    .kernarg_segment_align: 8
    .kernarg_segment_size: 20
    .language:       OpenCL C
    .language_version:
      - 2
      - 0
    .max_flat_workgroup_size: 256
    .name:           _Z21sort_keys_values_fullILj256ELj32ELj7ELb0EiN10test_utils16custom_test_typeIsEENS0_7greaterEEvPT3_PT4_T5_
    .private_segment_fixed_size: 0
    .sgpr_count:     36
    .sgpr_spill_count: 0
    .symbol:         _Z21sort_keys_values_fullILj256ELj32ELj7ELb0EiN10test_utils16custom_test_typeIsEENS0_7greaterEEvPT3_PT4_T5_.kd
    .uniform_work_group_size: 1
    .uses_dynamic_stack: false
    .vgpr_count:     50
    .vgpr_spill_count: 0
    .wavefront_size: 64
  - .args:
      - .address_space:  global
        .offset:         0
        .size:           8
        .value_kind:     global_buffer
      - .address_space:  global
        .offset:         8
        .size:           8
        .value_kind:     global_buffer
      - .offset:         16
        .size:           1
        .value_kind:     by_value
    .group_segment_fixed_size: 8448
    .kernarg_segment_align: 8
    .kernarg_segment_size: 20
    .language:       OpenCL C
    .language_version:
      - 2
      - 0
    .max_flat_workgroup_size: 256
    .name:           _Z21sort_keys_values_fullILj256ELj8ELj4ELb1ExsN10test_utils4lessEEvPT3_PT4_T5_
    .private_segment_fixed_size: 0
    .sgpr_count:     16
    .sgpr_spill_count: 0
    .symbol:         _Z21sort_keys_values_fullILj256ELj8ELj4ELb1ExsN10test_utils4lessEEvPT3_PT4_T5_.kd
    .uniform_work_group_size: 1
    .uses_dynamic_stack: false
    .vgpr_count:     52
    .vgpr_spill_count: 0
    .wavefront_size: 64
  - .args:
      - .address_space:  global
        .offset:         0
        .size:           8
        .value_kind:     global_buffer
      - .address_space:  global
        .offset:         8
        .size:           8
        .value_kind:     global_buffer
      - .offset:         16
        .size:           1
        .value_kind:     by_value
    .group_segment_fixed_size: 16448
    .kernarg_segment_align: 8
    .kernarg_segment_size: 20
    .language:       OpenCL C
    .language_version:
      - 2
      - 0
    .max_flat_workgroup_size: 256
    .name:           _Z21sort_keys_values_fullILj256ELj32ELj8ELb0EN10test_utils16custom_test_typeIfEEiNS0_4lessEEvPT3_PT4_T5_
    .private_segment_fixed_size: 0
    .sgpr_count:     26
    .sgpr_spill_count: 0
    .symbol:         _Z21sort_keys_values_fullILj256ELj32ELj8ELb0EN10test_utils16custom_test_typeIfEEiNS0_4lessEEvPT3_PT4_T5_.kd
    .uniform_work_group_size: 1
    .uses_dynamic_stack: false
    .vgpr_count:     67
    .vgpr_spill_count: 0
    .wavefront_size: 64
  - .args:
      - .address_space:  global
        .offset:         0
        .size:           8
        .value_kind:     global_buffer
      - .address_space:  global
        .offset:         8
        .size:           8
        .value_kind:     global_buffer
      - .offset:         16
        .size:           1
        .value_kind:     by_value
    .group_segment_fixed_size: 8256
    .kernarg_segment_align: 8
    .kernarg_segment_size: 20
    .language:       OpenCL C
    .language_version:
      - 2
      - 0
    .max_flat_workgroup_size: 256
    .name:           _Z21sort_keys_values_fullILj256ELj32ELj4ELb0EN10test_utils16custom_test_typeIfEEiNS0_4lessEEvPT3_PT4_T5_
    .private_segment_fixed_size: 0
    .sgpr_count:     18
    .sgpr_spill_count: 0
    .symbol:         _Z21sort_keys_values_fullILj256ELj32ELj4ELb0EN10test_utils16custom_test_typeIfEEiNS0_4lessEEvPT3_PT4_T5_.kd
    .uniform_work_group_size: 1
    .uses_dynamic_stack: false
    .vgpr_count:     39
    .vgpr_spill_count: 0
    .wavefront_size: 64
  - .args:
      - .address_space:  global
        .offset:         0
        .size:           8
        .value_kind:     global_buffer
      - .address_space:  global
        .offset:         8
        .size:           8
        .value_kind:     global_buffer
      - .offset:         16
        .size:           1
        .value_kind:     by_value
    .group_segment_fixed_size: 4160
    .kernarg_segment_align: 8
    .kernarg_segment_size: 20
    .language:       OpenCL C
    .language_version:
      - 2
      - 0
    .max_flat_workgroup_size: 256
    .name:           _Z21sort_keys_values_fullILj256ELj32ELj2ELb0EN10test_utils16custom_test_typeIfEEyNS0_4lessEEvPT3_PT4_T5_
    .private_segment_fixed_size: 0
    .sgpr_count:     16
    .sgpr_spill_count: 0
    .symbol:         _Z21sort_keys_values_fullILj256ELj32ELj2ELb0EN10test_utils16custom_test_typeIfEEyNS0_4lessEEvPT3_PT4_T5_.kd
    .uniform_work_group_size: 1
    .uses_dynamic_stack: false
    .vgpr_count:     26
    .vgpr_spill_count: 0
    .wavefront_size: 64
  - .args:
      - .address_space:  global
        .offset:         0
        .size:           8
        .value_kind:     global_buffer
      - .address_space:  global
        .offset:         8
        .size:           8
        .value_kind:     global_buffer
      - .offset:         16
        .size:           1
        .value_kind:     by_value
    .group_segment_fixed_size: 132
    .kernarg_segment_align: 8
    .kernarg_segment_size: 20
    .language:       OpenCL C
    .language_version:
      - 2
      - 0
    .max_flat_workgroup_size: 32
    .name:           _Z21sort_keys_values_fullILj32ELj32ELj1ELb0E12hip_bfloat16iN10test_utils4lessEEvPT3_PT4_T5_
    .private_segment_fixed_size: 0
    .sgpr_count:     12
    .sgpr_spill_count: 0
    .symbol:         _Z21sort_keys_values_fullILj32ELj32ELj1ELb0E12hip_bfloat16iN10test_utils4lessEEvPT3_PT4_T5_.kd
    .uniform_work_group_size: 1
    .uses_dynamic_stack: false
    .vgpr_count:     20
    .vgpr_spill_count: 0
    .wavefront_size: 64
  - .args:
      - .address_space:  global
        .offset:         0
        .size:           8
        .value_kind:     global_buffer
      - .address_space:  global
        .offset:         8
        .size:           8
        .value_kind:     global_buffer
      - .offset:         16
        .size:           1
        .value_kind:     by_value
    .group_segment_fixed_size: 132
    .kernarg_segment_align: 8
    .kernarg_segment_size: 20
    .language:       OpenCL C
    .language_version:
      - 2
      - 0
    .max_flat_workgroup_size: 32
    .name:           _Z21sort_keys_values_fullILj32ELj32ELj1ELb0E6__halfiN10test_utils4lessEEvPT3_PT4_T5_
    .private_segment_fixed_size: 0
    .sgpr_count:     12
    .sgpr_spill_count: 0
    .symbol:         _Z21sort_keys_values_fullILj32ELj32ELj1ELb0E6__halfiN10test_utils4lessEEvPT3_PT4_T5_.kd
    .uniform_work_group_size: 1
    .uses_dynamic_stack: false
    .vgpr_count:     20
    .vgpr_spill_count: 0
    .wavefront_size: 64
  - .args:
      - .address_space:  global
        .offset:         0
        .size:           8
        .value_kind:     global_buffer
      - .address_space:  global
        .offset:         8
        .size:           8
        .value_kind:     global_buffer
      - .offset:         16
        .size:           1
        .value_kind:     by_value
    .group_segment_fixed_size: 2080
    .kernarg_segment_align: 8
    .kernarg_segment_size: 20
    .language:       OpenCL C
    .language_version:
      - 2
      - 0
    .max_flat_workgroup_size: 512
    .name:           _Z21sort_keys_values_fullILj512ELj64ELj1ELb0EsiN10test_utils4lessEEvPT3_PT4_T5_
    .private_segment_fixed_size: 0
    .sgpr_count:     12
    .sgpr_spill_count: 0
    .symbol:         _Z21sort_keys_values_fullILj512ELj64ELj1ELb0EsiN10test_utils4lessEEvPT3_PT4_T5_.kd
    .uniform_work_group_size: 1
    .uses_dynamic_stack: false
    .vgpr_count:     21
    .vgpr_spill_count: 0
    .wavefront_size: 64
  - .args:
      - .address_space:  global
        .offset:         0
        .size:           8
        .value_kind:     global_buffer
      - .address_space:  global
        .offset:         8
        .size:           8
        .value_kind:     global_buffer
      - .offset:         16
        .size:           1
        .value_kind:     by_value
    .group_segment_fixed_size: 264
    .kernarg_segment_align: 8
    .kernarg_segment_size: 20
    .language:       OpenCL C
    .language_version:
      - 2
      - 0
    .max_flat_workgroup_size: 32
    .name:           _Z21sort_keys_values_fullILj32ELj32ELj1ELb0EdiN10test_utils4lessEEvPT3_PT4_T5_
    .private_segment_fixed_size: 0
    .sgpr_count:     12
    .sgpr_spill_count: 0
    .symbol:         _Z21sort_keys_values_fullILj32ELj32ELj1ELb0EdiN10test_utils4lessEEvPT3_PT4_T5_.kd
    .uniform_work_group_size: 1
    .uses_dynamic_stack: false
    .vgpr_count:     21
    .vgpr_spill_count: 0
    .wavefront_size: 64
  - .args:
      - .address_space:  global
        .offset:         0
        .size:           8
        .value_kind:     global_buffer
      - .address_space:  global
        .offset:         8
        .size:           8
        .value_kind:     global_buffer
      - .offset:         16
        .size:           1
        .value_kind:     by_value
    .group_segment_fixed_size: 272
    .kernarg_segment_align: 8
    .kernarg_segment_size: 20
    .language:       OpenCL C
    .language_version:
      - 2
      - 0
    .max_flat_workgroup_size: 64
    .name:           _Z21sort_keys_values_fullILj64ELj16ELj1ELb0EfcN10test_utils4lessEEvPT3_PT4_T5_
    .private_segment_fixed_size: 0
    .sgpr_count:     12
    .sgpr_spill_count: 0
    .symbol:         _Z21sort_keys_values_fullILj64ELj16ELj1ELb0EfcN10test_utils4lessEEvPT3_PT4_T5_.kd
    .uniform_work_group_size: 1
    .uses_dynamic_stack: false
    .vgpr_count:     21
    .vgpr_spill_count: 0
    .wavefront_size: 64
  - .args:
      - .address_space:  global
        .offset:         0
        .size:           8
        .value_kind:     global_buffer
      - .address_space:  global
        .offset:         8
        .size:           8
        .value_kind:     global_buffer
      - .offset:         16
        .size:           1
        .value_kind:     by_value
    .group_segment_fixed_size: 1536
    .kernarg_segment_align: 8
    .kernarg_segment_size: 20
    .language:       OpenCL C
    .language_version:
      - 2
      - 0
    .max_flat_workgroup_size: 256
    .name:           _Z21sort_keys_values_fullILj256ELj2ELj1ELb0EjiN10test_utils4lessEEvPT3_PT4_T5_
    .private_segment_fixed_size: 0
    .sgpr_count:     11
    .sgpr_spill_count: 0
    .symbol:         _Z21sort_keys_values_fullILj256ELj2ELj1ELb0EjiN10test_utils4lessEEvPT3_PT4_T5_.kd
    .uniform_work_group_size: 1
    .uses_dynamic_stack: false
    .vgpr_count:     14
    .vgpr_spill_count: 0
    .wavefront_size: 64
amdhsa.target:   amdgcn-amd-amdhsa--gfx906
amdhsa.version:
  - 1
  - 2
...

	.end_amdgpu_metadata
